;; amdgpu-corpus repo=ROCm/rocFFT kind=compiled arch=gfx950 opt=O3
	.text
	.amdgcn_target "amdgcn-amd-amdhsa--gfx950"
	.amdhsa_code_object_version 6
	.protected	fft_rtc_fwd_len2197_factors_13_13_13_wgs_169_tpt_169_halfLds_dp_ip_CI_sbrr_dirReg ; -- Begin function fft_rtc_fwd_len2197_factors_13_13_13_wgs_169_tpt_169_halfLds_dp_ip_CI_sbrr_dirReg
	.globl	fft_rtc_fwd_len2197_factors_13_13_13_wgs_169_tpt_169_halfLds_dp_ip_CI_sbrr_dirReg
	.p2align	8
	.type	fft_rtc_fwd_len2197_factors_13_13_13_wgs_169_tpt_169_halfLds_dp_ip_CI_sbrr_dirReg,@function
fft_rtc_fwd_len2197_factors_13_13_13_wgs_169_tpt_169_halfLds_dp_ip_CI_sbrr_dirReg: ; @fft_rtc_fwd_len2197_factors_13_13_13_wgs_169_tpt_169_halfLds_dp_ip_CI_sbrr_dirReg
; %bb.0:
	s_load_dwordx2 s[12:13], s[0:1], 0x18
	s_load_dwordx4 s[4:7], s[0:1], 0x0
	s_load_dwordx2 s[10:11], s[0:1], 0x50
	v_mul_u32_u24_e32 v1, 0x184, v0
	v_add_u32_sdwa v6, s2, v1 dst_sel:DWORD dst_unused:UNUSED_PAD src0_sel:DWORD src1_sel:WORD_1
	s_waitcnt lgkmcnt(0)
	s_load_dwordx2 s[8:9], s[12:13], 0x0
	v_mov_b32_e32 v4, 0
	v_cmp_lt_u64_e64 s[2:3], s[6:7], 2
	v_mov_b32_e32 v7, v4
	s_and_b64 vcc, exec, s[2:3]
	v_mov_b64_e32 v[2:3], 0
	s_cbranch_vccnz .LBB0_8
; %bb.1:
	s_load_dwordx2 s[2:3], s[0:1], 0x10
	s_add_u32 s14, s12, 8
	s_addc_u32 s15, s13, 0
	s_mov_b64 s[16:17], 1
	v_mov_b64_e32 v[2:3], 0
	s_waitcnt lgkmcnt(0)
	s_add_u32 s18, s2, 8
	s_addc_u32 s19, s3, 0
.LBB0_2:                                ; =>This Inner Loop Header: Depth=1
	s_load_dwordx2 s[20:21], s[18:19], 0x0
                                        ; implicit-def: $vgpr8_vgpr9
	s_waitcnt lgkmcnt(0)
	v_or_b32_e32 v5, s21, v7
	v_cmp_ne_u64_e32 vcc, 0, v[4:5]
	s_and_saveexec_b64 s[2:3], vcc
	s_xor_b64 s[22:23], exec, s[2:3]
	s_cbranch_execz .LBB0_4
; %bb.3:                                ;   in Loop: Header=BB0_2 Depth=1
	v_cvt_f32_u32_e32 v1, s20
	v_cvt_f32_u32_e32 v5, s21
	s_sub_u32 s2, 0, s20
	s_subb_u32 s3, 0, s21
	v_fmac_f32_e32 v1, 0x4f800000, v5
	v_rcp_f32_e32 v1, v1
	s_nop 0
	v_mul_f32_e32 v1, 0x5f7ffffc, v1
	v_mul_f32_e32 v5, 0x2f800000, v1
	v_trunc_f32_e32 v5, v5
	v_fmac_f32_e32 v1, 0xcf800000, v5
	v_cvt_u32_f32_e32 v5, v5
	v_cvt_u32_f32_e32 v1, v1
	v_mul_lo_u32 v8, s2, v5
	v_mul_hi_u32 v10, s2, v1
	v_mul_lo_u32 v9, s3, v1
	v_add_u32_e32 v10, v10, v8
	v_mul_lo_u32 v12, s2, v1
	v_add_u32_e32 v13, v10, v9
	v_mul_hi_u32 v8, v1, v12
	v_mul_hi_u32 v11, v1, v13
	v_mul_lo_u32 v10, v1, v13
	v_mov_b32_e32 v9, v4
	v_lshl_add_u64 v[8:9], v[8:9], 0, v[10:11]
	v_mul_hi_u32 v11, v5, v12
	v_mul_lo_u32 v12, v5, v12
	v_add_co_u32_e32 v8, vcc, v8, v12
	v_mul_hi_u32 v10, v5, v13
	s_nop 0
	v_addc_co_u32_e32 v8, vcc, v9, v11, vcc
	v_mov_b32_e32 v9, v4
	s_nop 0
	v_addc_co_u32_e32 v11, vcc, 0, v10, vcc
	v_mul_lo_u32 v10, v5, v13
	v_lshl_add_u64 v[8:9], v[8:9], 0, v[10:11]
	v_add_co_u32_e32 v1, vcc, v1, v8
	v_mul_lo_u32 v10, s2, v1
	s_nop 0
	v_addc_co_u32_e32 v5, vcc, v5, v9, vcc
	v_mul_lo_u32 v8, s2, v5
	v_mul_hi_u32 v9, s2, v1
	v_add_u32_e32 v8, v9, v8
	v_mul_lo_u32 v9, s3, v1
	v_add_u32_e32 v12, v8, v9
	v_mul_hi_u32 v14, v5, v10
	v_mul_lo_u32 v15, v5, v10
	v_mul_hi_u32 v9, v1, v12
	v_mul_lo_u32 v8, v1, v12
	v_mul_hi_u32 v10, v1, v10
	v_mov_b32_e32 v11, v4
	v_lshl_add_u64 v[8:9], v[10:11], 0, v[8:9]
	v_add_co_u32_e32 v8, vcc, v8, v15
	v_mul_hi_u32 v13, v5, v12
	s_nop 0
	v_addc_co_u32_e32 v8, vcc, v9, v14, vcc
	v_mul_lo_u32 v10, v5, v12
	s_nop 0
	v_addc_co_u32_e32 v11, vcc, 0, v13, vcc
	v_mov_b32_e32 v9, v4
	v_lshl_add_u64 v[8:9], v[8:9], 0, v[10:11]
	v_add_co_u32_e32 v1, vcc, v1, v8
	v_mul_hi_u32 v10, v6, v1
	s_nop 0
	v_addc_co_u32_e32 v5, vcc, v5, v9, vcc
	v_mad_u64_u32 v[8:9], s[2:3], v6, v5, 0
	v_mov_b32_e32 v11, v4
	v_lshl_add_u64 v[8:9], v[10:11], 0, v[8:9]
	v_mad_u64_u32 v[12:13], s[2:3], v7, v1, 0
	v_add_co_u32_e32 v1, vcc, v8, v12
	v_mad_u64_u32 v[10:11], s[2:3], v7, v5, 0
	s_nop 0
	v_addc_co_u32_e32 v8, vcc, v9, v13, vcc
	v_mov_b32_e32 v9, v4
	s_nop 0
	v_addc_co_u32_e32 v11, vcc, 0, v11, vcc
	v_lshl_add_u64 v[8:9], v[8:9], 0, v[10:11]
	v_mul_lo_u32 v1, s21, v8
	v_mul_lo_u32 v5, s20, v9
	v_mad_u64_u32 v[10:11], s[2:3], s20, v8, 0
	v_add3_u32 v1, v11, v5, v1
	v_sub_u32_e32 v5, v7, v1
	v_mov_b32_e32 v11, s21
	v_sub_co_u32_e32 v14, vcc, v6, v10
	v_lshl_add_u64 v[12:13], v[8:9], 0, 1
	s_nop 0
	v_subb_co_u32_e64 v5, s[2:3], v5, v11, vcc
	v_subrev_co_u32_e64 v10, s[2:3], s20, v14
	v_subb_co_u32_e32 v1, vcc, v7, v1, vcc
	s_nop 0
	v_subbrev_co_u32_e64 v5, s[2:3], 0, v5, s[2:3]
	v_cmp_le_u32_e64 s[2:3], s21, v5
	v_cmp_le_u32_e32 vcc, s21, v1
	s_nop 0
	v_cndmask_b32_e64 v11, 0, -1, s[2:3]
	v_cmp_le_u32_e64 s[2:3], s20, v10
	s_nop 1
	v_cndmask_b32_e64 v10, 0, -1, s[2:3]
	v_cmp_eq_u32_e64 s[2:3], s21, v5
	s_nop 1
	v_cndmask_b32_e64 v5, v11, v10, s[2:3]
	v_lshl_add_u64 v[10:11], v[8:9], 0, 2
	v_cmp_ne_u32_e64 s[2:3], 0, v5
	s_nop 1
	v_cndmask_b32_e64 v5, v13, v11, s[2:3]
	v_cndmask_b32_e64 v11, 0, -1, vcc
	v_cmp_le_u32_e32 vcc, s20, v14
	s_nop 1
	v_cndmask_b32_e64 v13, 0, -1, vcc
	v_cmp_eq_u32_e32 vcc, s21, v1
	s_nop 1
	v_cndmask_b32_e32 v1, v11, v13, vcc
	v_cmp_ne_u32_e32 vcc, 0, v1
	v_cndmask_b32_e64 v1, v12, v10, s[2:3]
	s_nop 0
	v_cndmask_b32_e32 v9, v9, v5, vcc
	v_cndmask_b32_e32 v8, v8, v1, vcc
.LBB0_4:                                ;   in Loop: Header=BB0_2 Depth=1
	s_andn2_saveexec_b64 s[2:3], s[22:23]
	s_cbranch_execz .LBB0_6
; %bb.5:                                ;   in Loop: Header=BB0_2 Depth=1
	v_cvt_f32_u32_e32 v1, s20
	s_sub_i32 s22, 0, s20
	v_rcp_iflag_f32_e32 v1, v1
	s_nop 0
	v_mul_f32_e32 v1, 0x4f7ffffe, v1
	v_cvt_u32_f32_e32 v1, v1
	v_mul_lo_u32 v5, s22, v1
	v_mul_hi_u32 v5, v1, v5
	v_add_u32_e32 v1, v1, v5
	v_mul_hi_u32 v1, v6, v1
	v_mul_lo_u32 v5, v1, s20
	v_sub_u32_e32 v5, v6, v5
	v_add_u32_e32 v8, 1, v1
	v_subrev_u32_e32 v9, s20, v5
	v_cmp_le_u32_e32 vcc, s20, v5
	s_nop 1
	v_cndmask_b32_e32 v5, v5, v9, vcc
	v_cndmask_b32_e32 v1, v1, v8, vcc
	v_add_u32_e32 v8, 1, v1
	v_cmp_le_u32_e32 vcc, s20, v5
	v_mov_b32_e32 v9, v4
	s_nop 0
	v_cndmask_b32_e32 v8, v1, v8, vcc
.LBB0_6:                                ;   in Loop: Header=BB0_2 Depth=1
	s_or_b64 exec, exec, s[2:3]
	v_mad_u64_u32 v[10:11], s[2:3], v8, s20, 0
	s_load_dwordx2 s[2:3], s[14:15], 0x0
	v_mul_lo_u32 v1, v9, s20
	v_mul_lo_u32 v5, v8, s21
	v_add3_u32 v1, v11, v5, v1
	v_sub_co_u32_e32 v5, vcc, v6, v10
	s_add_u32 s16, s16, 1
	s_nop 0
	v_subb_co_u32_e32 v1, vcc, v7, v1, vcc
	s_addc_u32 s17, s17, 0
	s_waitcnt lgkmcnt(0)
	v_mul_lo_u32 v1, s2, v1
	v_mul_lo_u32 v6, s3, v5
	v_mad_u64_u32 v[2:3], s[2:3], s2, v5, v[2:3]
	s_add_u32 s14, s14, 8
	v_add3_u32 v3, v6, v3, v1
	s_addc_u32 s15, s15, 0
	v_mov_b64_e32 v[6:7], s[6:7]
	s_add_u32 s18, s18, 8
	v_cmp_ge_u64_e32 vcc, s[16:17], v[6:7]
	s_addc_u32 s19, s19, 0
	s_cbranch_vccnz .LBB0_9
; %bb.7:                                ;   in Loop: Header=BB0_2 Depth=1
	v_mov_b64_e32 v[6:7], v[8:9]
	s_branch .LBB0_2
.LBB0_8:
	v_mov_b64_e32 v[8:9], v[6:7]
.LBB0_9:
	s_lshl_b64 s[2:3], s[6:7], 3
	s_add_u32 s2, s12, s2
	s_addc_u32 s3, s13, s3
	s_load_dwordx2 s[6:7], s[2:3], 0x0
	s_load_dwordx2 s[12:13], s[0:1], 0x20
	v_mov_b32_e32 v138, 0
                                        ; implicit-def: $vgpr50_vgpr51
                                        ; implicit-def: $vgpr46_vgpr47
                                        ; implicit-def: $vgpr42_vgpr43
                                        ; implicit-def: $vgpr30_vgpr31
                                        ; implicit-def: $vgpr18_vgpr19
                                        ; implicit-def: $vgpr6_vgpr7
                                        ; implicit-def: $vgpr10_vgpr11
                                        ; implicit-def: $vgpr14_vgpr15
                                        ; implicit-def: $vgpr22_vgpr23
                                        ; implicit-def: $vgpr34_vgpr35
                                        ; implicit-def: $vgpr38_vgpr39
                                        ; implicit-def: $vgpr26_vgpr27
	s_waitcnt lgkmcnt(0)
	v_mad_u64_u32 v[2:3], s[0:1], s6, v8, v[2:3]
	v_mul_lo_u32 v1, s6, v9
	v_mul_lo_u32 v4, s7, v8
	s_mov_b32 s0, 0x183c978
	v_add3_u32 v3, v4, v3, v1
	v_mul_hi_u32 v1, v0, s0
	v_mul_u32_u24_e32 v1, 0xa9, v1
	v_cmp_gt_u64_e32 vcc, s[12:13], v[8:9]
	v_sub_u32_e32 v66, v0, v1
	v_lshl_add_u64 v[52:53], v[2:3], 4, s[10:11]
                                        ; implicit-def: $vgpr2_vgpr3
	s_and_saveexec_b64 s[0:1], vcc
	s_cbranch_execz .LBB0_11
; %bb.10:
	v_mad_u64_u32 v[0:1], s[2:3], s8, v66, 0
	v_mov_b32_e32 v2, v1
	v_mad_u64_u32 v[2:3], s[2:3], s9, v66, v[2:3]
	v_add_u32_e32 v5, 0xa9, v66
	v_mov_b32_e32 v1, v2
	v_mad_u64_u32 v[2:3], s[2:3], s8, v5, 0
	v_mov_b32_e32 v4, v3
	v_mad_u64_u32 v[4:5], s[2:3], s9, v5, v[4:5]
	v_mov_b32_e32 v3, v4
	v_lshl_add_u64 v[0:1], v[0:1], 4, v[52:53]
	v_lshl_add_u64 v[2:3], v[2:3], 4, v[52:53]
	global_load_dwordx4 v[24:27], v[0:1], off
	global_load_dwordx4 v[36:39], v[2:3], off
	v_add_u32_e32 v3, 0x152, v66
	v_mad_u64_u32 v[0:1], s[2:3], s8, v3, 0
	v_mov_b32_e32 v2, v1
	v_mad_u64_u32 v[2:3], s[2:3], s9, v3, v[2:3]
	v_add_u32_e32 v5, 0x1fb, v66
	v_mov_b32_e32 v1, v2
	v_mad_u64_u32 v[2:3], s[2:3], s8, v5, 0
	v_mov_b32_e32 v4, v3
	v_mad_u64_u32 v[4:5], s[2:3], s9, v5, v[4:5]
	v_mov_b32_e32 v3, v4
	v_lshl_add_u64 v[0:1], v[0:1], 4, v[52:53]
	v_lshl_add_u64 v[2:3], v[2:3], 4, v[52:53]
	global_load_dwordx4 v[32:35], v[0:1], off
	global_load_dwordx4 v[20:23], v[2:3], off
	v_add_u32_e32 v3, 0x2a4, v66
	;; [unrolled: 14-line block ×3, first 2 shown]
	v_mad_u64_u32 v[0:1], s[2:3], s8, v3, 0
	v_mov_b32_e32 v2, v1
	v_mad_u64_u32 v[2:3], s[2:3], s9, v3, v[2:3]
	v_mov_b32_e32 v1, v2
	v_add_u32_e32 v3, 0x49f, v66
	v_lshl_add_u64 v[16:17], v[0:1], 4, v[52:53]
	v_mad_u64_u32 v[0:1], s[2:3], s8, v3, 0
	v_mov_b32_e32 v2, v1
	v_mad_u64_u32 v[2:3], s[2:3], s9, v3, v[2:3]
	v_mov_b32_e32 v1, v2
	v_lshl_add_u64 v[18:19], v[0:1], 4, v[52:53]
	global_load_dwordx4 v[4:7], v[16:17], off
	global_load_dwordx4 v[0:3], v[18:19], off
	v_add_u32_e32 v19, 0x548, v66
	v_mad_u64_u32 v[16:17], s[2:3], s8, v19, 0
	v_mov_b32_e32 v18, v17
	v_mad_u64_u32 v[18:19], s[2:3], s9, v19, v[18:19]
	v_mov_b32_e32 v17, v18
	v_add_u32_e32 v19, 0x5f1, v66
	v_lshl_add_u64 v[40:41], v[16:17], 4, v[52:53]
	v_mad_u64_u32 v[16:17], s[2:3], s8, v19, 0
	v_mov_b32_e32 v18, v17
	v_mad_u64_u32 v[18:19], s[2:3], s9, v19, v[18:19]
	v_mov_b32_e32 v17, v18
	v_lshl_add_u64 v[42:43], v[16:17], 4, v[52:53]
	global_load_dwordx4 v[16:19], v[40:41], off
	global_load_dwordx4 v[28:31], v[42:43], off
	v_add_u32_e32 v43, 0x69a, v66
	;; [unrolled: 14-line block ×3, first 2 shown]
	v_mad_u64_u32 v[48:49], s[2:3], s8, v51, 0
	v_mov_b32_e32 v50, v49
	v_mad_u64_u32 v[50:51], s[2:3], s9, v51, v[50:51]
	v_mov_b32_e32 v49, v50
	v_lshl_add_u64 v[48:49], v[48:49], 4, v[52:53]
	global_load_dwordx4 v[48:51], v[48:49], off
	v_mov_b32_e32 v138, v66
.LBB0_11:
	s_or_b64 exec, exec, s[0:1]
	s_waitcnt vmcnt(11)
	v_add_f64 v[54:55], v[36:37], v[24:25]
	v_add_f64 v[56:57], v[38:39], v[26:27]
	s_waitcnt vmcnt(10)
	v_add_f64 v[54:55], v[32:33], v[54:55]
	v_add_f64 v[56:57], v[34:35], v[56:57]
	;; [unrolled: 3-line block ×11, first 2 shown]
	s_mov_b32 s22, 0x4267c47c
	s_mov_b32 s28, 0x42a4c3d2
	;; [unrolled: 1-line block ×6, first 2 shown]
	s_waitcnt vmcnt(0)
	v_add_f64 v[56:57], v[48:49], v[54:55]
	v_add_f64 v[54:55], v[50:51], v[58:59]
	;; [unrolled: 1-line block ×3, first 2 shown]
	v_add_f64 v[36:37], v[36:37], -v[48:49]
	s_mov_b32 s0, 0xe00740e9
	s_mov_b32 s23, 0x3fddbe06
	;; [unrolled: 1-line block ×24, first 2 shown]
	v_add_f64 v[60:61], v[50:51], v[38:39]
	s_mov_b32 s1, 0x3fec55a7
	v_mul_f64 v[62:63], v[36:37], s[6:7]
	s_mov_b32 s3, 0x3fe22d96
	v_mul_f64 v[72:73], v[36:37], s[12:13]
	;; [unrolled: 2-line block ×6, first 2 shown]
	v_fma_f64 v[64:65], s[0:1], v[60:61], v[62:63]
	v_fma_f64 v[62:63], v[60:61], s[0:1], -v[62:63]
	v_fma_f64 v[74:75], s[2:3], v[60:61], v[72:73]
	v_fma_f64 v[72:73], v[60:61], s[2:3], -v[72:73]
	;; [unrolled: 2-line block ×6, first 2 shown]
	v_add_f64 v[38:39], v[38:39], -v[50:51]
	v_mul_f64 v[48:49], v[58:59], s[0:1]
	v_add_f64 v[64:65], v[26:27], v[64:65]
	v_add_f64 v[62:63], v[26:27], v[62:63]
	v_mul_f64 v[68:69], v[58:59], s[2:3]
	v_add_f64 v[74:75], v[26:27], v[74:75]
	v_add_f64 v[72:73], v[26:27], v[72:73]
	;; [unrolled: 3-line block ×6, first 2 shown]
	v_add_f64 v[36:37], v[44:45], v[32:33]
	v_fma_f64 v[50:51], s[22:23], v[38:39], v[48:49]
	v_fmac_f64_e32 v[48:49], s[6:7], v[38:39]
	v_fma_f64 v[70:71], s[28:29], v[38:39], v[68:69]
	v_fmac_f64_e32 v[68:69], s[12:13], v[38:39]
	;; [unrolled: 2-line block ×6, first 2 shown]
	v_add_f64 v[38:39], v[46:47], v[34:35]
	v_add_f64 v[32:33], v[32:33], -v[44:45]
	v_add_f64 v[34:35], v[34:35], -v[46:47]
	v_mul_f64 v[44:45], v[36:37], s[2:3]
	v_add_f64 v[50:51], v[24:25], v[50:51]
	v_fma_f64 v[46:47], s[28:29], v[34:35], v[44:45]
	v_add_f64 v[48:49], v[24:25], v[48:49]
	v_add_f64 v[46:47], v[46:47], v[50:51]
	v_mul_f64 v[50:51], v[32:33], s[12:13]
	v_fmac_f64_e32 v[44:45], s[12:13], v[34:35]
	v_add_f64 v[70:71], v[24:25], v[70:71]
	v_add_f64 v[68:69], v[24:25], v[68:69]
	;; [unrolled: 1-line block ×10, first 2 shown]
	v_fma_f64 v[58:59], s[2:3], v[38:39], v[50:51]
	v_add_f64 v[44:45], v[44:45], v[48:49]
	v_fma_f64 v[48:49], v[38:39], s[2:3], -v[50:51]
	v_mul_f64 v[50:51], v[36:37], s[14:15]
	v_add_f64 v[48:49], v[48:49], v[62:63]
	v_fma_f64 v[60:61], s[38:39], v[34:35], v[50:51]
	v_mul_f64 v[62:63], v[32:33], s[20:21]
	v_fmac_f64_e32 v[50:51], s[20:21], v[34:35]
	v_add_f64 v[58:59], v[58:59], v[64:65]
	v_fma_f64 v[64:65], s[14:15], v[38:39], v[62:63]
	v_add_f64 v[50:51], v[50:51], v[68:69]
	v_fma_f64 v[62:63], v[38:39], s[14:15], -v[62:63]
	v_mul_f64 v[68:69], v[36:37], s[24:25]
	v_add_f64 v[60:61], v[60:61], v[70:71]
	v_add_f64 v[62:63], v[62:63], v[72:73]
	v_fma_f64 v[70:71], s[36:37], v[34:35], v[68:69]
	v_mul_f64 v[72:73], v[32:33], s[34:35]
	v_fmac_f64_e32 v[68:69], s[34:35], v[34:35]
	v_add_f64 v[64:65], v[64:65], v[74:75]
	v_fma_f64 v[74:75], s[24:25], v[38:39], v[72:73]
	v_add_f64 v[68:69], v[68:69], v[76:77]
	v_fma_f64 v[72:73], v[38:39], s[24:25], -v[72:73]
	v_mul_f64 v[76:77], v[36:37], s[18:19]
	v_add_f64 v[70:71], v[70:71], v[78:79]
	;; [unrolled: 10-line block ×3, first 2 shown]
	v_add_f64 v[80:81], v[80:81], v[88:89]
	v_fma_f64 v[86:87], s[16:17], v[34:35], v[84:85]
	v_mul_f64 v[88:89], v[32:33], s[30:31]
	v_mul_f64 v[32:33], v[32:33], s[22:23]
	v_add_f64 v[86:87], v[86:87], v[94:95]
	v_fmac_f64_e32 v[84:85], s[30:31], v[34:35]
	v_mul_f64 v[36:37], v[36:37], s[0:1]
	v_fma_f64 v[94:95], s[0:1], v[38:39], v[32:33]
	v_fma_f64 v[32:33], v[38:39], s[0:1], -v[32:33]
	v_add_f64 v[84:85], v[84:85], v[92:93]
	v_fma_f64 v[92:93], s[6:7], v[34:35], v[36:37]
	v_fmac_f64_e32 v[36:37], s[22:23], v[34:35]
	v_add_f64 v[26:27], v[32:33], v[26:27]
	v_add_f64 v[32:33], v[40:41], v[20:21]
	;; [unrolled: 1-line block ×4, first 2 shown]
	v_add_f64 v[22:23], v[22:23], -v[42:43]
	v_mul_f64 v[36:37], v[32:33], s[10:11]
	v_add_f64 v[82:83], v[82:83], v[90:91]
	v_fma_f64 v[90:91], s[10:11], v[38:39], v[88:89]
	v_fma_f64 v[88:89], v[38:39], s[10:11], -v[88:89]
	v_add_f64 v[20:21], v[20:21], -v[40:41]
	v_fma_f64 v[38:39], s[30:31], v[22:23], v[36:37]
	v_fmac_f64_e32 v[36:37], s[16:17], v[22:23]
	v_mul_f64 v[40:41], v[20:21], s[16:17]
	v_add_f64 v[36:37], v[36:37], v[44:45]
	v_mul_f64 v[44:45], v[32:33], s[24:25]
	v_add_f64 v[38:39], v[38:39], v[46:47]
	v_fma_f64 v[42:43], s[10:11], v[34:35], v[40:41]
	v_fma_f64 v[40:41], v[34:35], s[10:11], -v[40:41]
	v_fma_f64 v[46:47], s[36:37], v[22:23], v[44:45]
	v_fmac_f64_e32 v[44:45], s[34:35], v[22:23]
	v_add_f64 v[40:41], v[40:41], v[48:49]
	v_mul_f64 v[48:49], v[20:21], s[34:35]
	v_add_f64 v[44:45], v[44:45], v[50:51]
	v_mul_f64 v[50:51], v[32:33], s[14:15]
	v_add_f64 v[42:43], v[42:43], v[58:59]
	v_add_f64 v[46:47], v[46:47], v[60:61]
	v_fma_f64 v[58:59], s[24:25], v[34:35], v[48:49]
	v_fma_f64 v[48:49], v[34:35], s[24:25], -v[48:49]
	v_fma_f64 v[60:61], s[20:21], v[22:23], v[50:51]
	v_fmac_f64_e32 v[50:51], s[38:39], v[22:23]
	v_add_f64 v[48:49], v[48:49], v[62:63]
	v_mul_f64 v[62:63], v[20:21], s[38:39]
	v_add_f64 v[50:51], v[50:51], v[68:69]
	v_mul_f64 v[68:69], v[32:33], s[0:1]
	v_add_f64 v[58:59], v[58:59], v[64:65]
	;; [unrolled: 10-line block ×3, first 2 shown]
	v_add_f64 v[70:71], v[70:71], v[78:79]
	v_fma_f64 v[74:75], s[0:1], v[34:35], v[72:73]
	v_fma_f64 v[72:73], v[34:35], s[0:1], -v[72:73]
	v_fma_f64 v[78:79], s[28:29], v[22:23], v[76:77]
	v_fmac_f64_e32 v[76:77], s[12:13], v[22:23]
	v_mul_f64 v[32:33], v[32:33], s[18:19]
	v_add_f64 v[72:73], v[72:73], v[80:81]
	v_mul_f64 v[80:81], v[20:21], s[12:13]
	v_add_f64 v[76:77], v[76:77], v[84:85]
	v_fma_f64 v[84:85], s[40:41], v[22:23], v[32:33]
	v_mul_f64 v[20:21], v[20:21], s[26:27]
	v_fmac_f64_e32 v[32:33], s[26:27], v[22:23]
	v_add_f64 v[78:79], v[78:79], v[86:87]
	v_fma_f64 v[86:87], s[18:19], v[34:35], v[20:21]
	v_add_f64 v[22:23], v[32:33], v[24:25]
	v_fma_f64 v[20:21], v[34:35], s[18:19], -v[20:21]
	v_add_f64 v[24:25], v[28:29], v[12:13]
	v_add_f64 v[20:21], v[20:21], v[26:27]
	;; [unrolled: 1-line block ×3, first 2 shown]
	v_add_f64 v[12:13], v[12:13], -v[28:29]
	v_add_f64 v[14:15], v[14:15], -v[30:31]
	v_mul_f64 v[28:29], v[24:25], s[14:15]
	v_fma_f64 v[30:31], s[38:39], v[14:15], v[28:29]
	v_fmac_f64_e32 v[28:29], s[20:21], v[14:15]
	v_add_f64 v[28:29], v[28:29], v[36:37]
	v_mul_f64 v[36:37], v[24:25], s[18:19]
	v_add_f64 v[30:31], v[30:31], v[38:39]
	v_fma_f64 v[38:39], s[26:27], v[14:15], v[36:37]
	v_fmac_f64_e32 v[36:37], s[40:41], v[14:15]
	v_add_f64 v[36:37], v[36:37], v[44:45]
	v_mul_f64 v[44:45], v[24:25], s[0:1]
	v_add_f64 v[88:89], v[88:89], v[96:97]
	v_add_f64 v[74:75], v[74:75], v[82:83]
	v_fma_f64 v[82:83], s[2:3], v[34:35], v[80:81]
	v_fma_f64 v[80:81], v[34:35], s[2:3], -v[80:81]
	v_mul_f64 v[32:33], v[12:13], s[20:21]
	v_add_f64 v[38:39], v[38:39], v[46:47]
	v_fma_f64 v[46:47], s[6:7], v[14:15], v[44:45]
	v_add_f64 v[90:91], v[90:91], v[98:99]
	v_add_f64 v[80:81], v[80:81], v[88:89]
	v_fma_f64 v[34:35], s[14:15], v[26:27], v[32:33]
	v_fma_f64 v[32:33], v[26:27], s[14:15], -v[32:33]
	v_add_f64 v[88:89], v[46:47], v[60:61]
	v_mul_f64 v[46:47], v[12:13], s[22:23]
	v_fmac_f64_e32 v[44:45], s[22:23], v[14:15]
	v_add_f64 v[82:83], v[82:83], v[90:91]
	v_add_f64 v[32:33], v[32:33], v[40:41]
	v_mul_f64 v[40:41], v[12:13], s[40:41]
	v_add_f64 v[90:91], v[44:45], v[50:51]
	v_fma_f64 v[44:45], v[26:27], s[0:1], -v[46:47]
	v_add_f64 v[34:35], v[34:35], v[42:43]
	v_fma_f64 v[42:43], s[18:19], v[26:27], v[40:41]
	v_fma_f64 v[40:41], v[26:27], s[18:19], -v[40:41]
	v_add_f64 v[62:63], v[44:45], v[62:63]
	v_mul_f64 v[44:45], v[24:25], s[10:11]
	v_add_f64 v[40:41], v[40:41], v[48:49]
	v_fma_f64 v[48:49], s[0:1], v[26:27], v[46:47]
	v_fma_f64 v[46:47], s[30:31], v[14:15], v[44:45]
	v_add_f64 v[70:71], v[46:47], v[70:71]
	v_mul_f64 v[46:47], v[12:13], s[16:17]
	v_fmac_f64_e32 v[44:45], s[16:17], v[14:15]
	v_add_f64 v[68:69], v[44:45], v[68:69]
	v_fma_f64 v[44:45], v[26:27], s[10:11], -v[46:47]
	v_add_f64 v[72:73], v[44:45], v[72:73]
	v_mul_f64 v[44:45], v[24:25], s[24:25]
	v_add_f64 v[64:65], v[48:49], v[64:65]
	v_fma_f64 v[48:49], s[10:11], v[26:27], v[46:47]
	v_fma_f64 v[46:47], s[34:35], v[14:15], v[44:45]
	v_add_f64 v[78:79], v[46:47], v[78:79]
	v_mul_f64 v[46:47], v[12:13], s[36:37]
	v_fmac_f64_e32 v[44:45], s[36:37], v[14:15]
	v_add_f64 v[92:93], v[92:93], v[100:101]
	v_add_f64 v[76:77], v[44:45], v[76:77]
	v_fma_f64 v[44:45], v[26:27], s[24:25], -v[46:47]
	v_mul_f64 v[24:25], v[24:25], s[2:3]
	v_add_f64 v[84:85], v[84:85], v[92:93]
	v_add_f64 v[80:81], v[44:45], v[80:81]
	v_fma_f64 v[44:45], s[12:13], v[14:15], v[24:25]
	v_mul_f64 v[12:13], v[12:13], s[28:29]
	v_add_f64 v[94:95], v[94:95], v[102:103]
	v_add_f64 v[84:85], v[44:45], v[84:85]
	v_fma_f64 v[44:45], s[2:3], v[26:27], v[12:13]
	v_fma_f64 v[12:13], v[26:27], s[2:3], -v[12:13]
	v_add_f64 v[86:87], v[86:87], v[94:95]
	v_add_f64 v[94:95], v[12:13], v[20:21]
	;; [unrolled: 1-line block ×3, first 2 shown]
	v_fmac_f64_e32 v[24:25], s[28:29], v[14:15]
	v_add_f64 v[96:97], v[18:19], v[10:11]
	v_add_f64 v[10:11], v[10:11], -v[18:19]
	v_mul_f64 v[14:15], v[12:13], s[18:19]
	v_add_f64 v[8:9], v[8:9], -v[16:17]
	v_fma_f64 v[16:17], s[40:41], v[10:11], v[14:15]
	v_add_f64 v[60:61], v[16:17], v[30:31]
	v_mul_f64 v[16:17], v[8:9], s[26:27]
	v_fmac_f64_e32 v[14:15], s[26:27], v[10:11]
	v_add_f64 v[74:75], v[48:49], v[74:75]
	v_fma_f64 v[48:49], s[24:25], v[26:27], v[46:47]
	v_add_f64 v[46:47], v[14:15], v[28:29]
	v_fma_f64 v[14:15], v[96:97], s[18:19], -v[16:17]
	v_add_f64 v[82:83], v[48:49], v[82:83]
	v_add_f64 v[48:49], v[14:15], v[32:33]
	v_mul_f64 v[14:15], v[12:13], s[10:11]
	v_fma_f64 v[18:19], s[18:19], v[96:97], v[16:17]
	v_fma_f64 v[16:17], s[16:17], v[10:11], v[14:15]
	v_add_f64 v[50:51], v[16:17], v[38:39]
	v_mul_f64 v[16:17], v[8:9], s[30:31]
	v_add_f64 v[42:43], v[42:43], v[58:59]
	v_add_f64 v[58:59], v[18:19], v[34:35]
	v_fma_f64 v[18:19], s[10:11], v[96:97], v[16:17]
	v_fmac_f64_e32 v[14:15], s[30:31], v[10:11]
	v_add_f64 v[86:87], v[44:45], v[86:87]
	v_add_f64 v[44:45], v[18:19], v[42:43]
	;; [unrolled: 1-line block ×3, first 2 shown]
	v_fma_f64 v[14:15], v[96:97], s[10:11], -v[16:17]
	v_add_f64 v[40:41], v[14:15], v[40:41]
	v_mul_f64 v[14:15], v[12:13], s[2:3]
	v_fma_f64 v[16:17], s[28:29], v[10:11], v[14:15]
	v_add_f64 v[38:39], v[16:17], v[88:89]
	v_mul_f64 v[16:17], v[8:9], s[12:13]
	v_fmac_f64_e32 v[14:15], s[12:13], v[10:11]
	v_add_f64 v[34:35], v[14:15], v[90:91]
	v_fma_f64 v[14:15], v[96:97], s[2:3], -v[16:17]
	v_add_f64 v[32:33], v[14:15], v[62:63]
	v_mul_f64 v[14:15], v[12:13], s[24:25]
	v_fma_f64 v[18:19], s[2:3], v[96:97], v[16:17]
	v_fma_f64 v[16:17], s[34:35], v[10:11], v[14:15]
	v_add_f64 v[30:31], v[16:17], v[70:71]
	v_mul_f64 v[16:17], v[8:9], s[36:37]
	v_fmac_f64_e32 v[14:15], s[36:37], v[10:11]
	v_add_f64 v[26:27], v[14:15], v[68:69]
	v_fma_f64 v[14:15], v[96:97], s[24:25], -v[16:17]
	v_mul_f64 v[62:63], v[12:13], s[14:15]
	v_add_f64 v[92:93], v[24:25], v[22:23]
	v_add_f64 v[36:37], v[18:19], v[64:65]
	;; [unrolled: 1-line block ×3, first 2 shown]
	v_mul_f64 v[14:15], v[12:13], s[0:1]
	v_fma_f64 v[12:13], s[38:39], v[10:11], v[62:63]
	v_fmac_f64_e32 v[62:63], s[20:21], v[10:11]
	v_add_f64 v[64:65], v[0:1], v[4:5]
	v_fma_f64 v[18:19], s[24:25], v[96:97], v[16:17]
	v_fma_f64 v[16:17], s[6:7], v[10:11], v[14:15]
	v_fmac_f64_e32 v[14:15], s[22:23], v[10:11]
	v_add_f64 v[10:11], v[62:63], v[92:93]
	v_add_f64 v[62:63], v[2:3], v[6:7]
	v_add_f64 v[4:5], v[4:5], -v[0:1]
	v_add_f64 v[0:1], v[6:7], -v[2:3]
	v_mul_f64 v[2:3], v[64:65], s[24:25]
	v_fma_f64 v[6:7], s[36:37], v[0:1], v[2:3]
	v_add_f64 v[6:7], v[6:7], v[60:61]
	v_mul_f64 v[60:61], v[4:5], s[34:35]
	v_fmac_f64_e32 v[2:3], s[34:35], v[0:1]
	v_add_f64 v[2:3], v[2:3], v[46:47]
	v_fma_f64 v[46:47], v[62:63], s[24:25], -v[60:61]
	v_fma_f64 v[68:69], s[24:25], v[62:63], v[60:61]
	v_add_f64 v[46:47], v[46:47], v[48:49]
	v_mul_f64 v[48:49], v[64:65], s[0:1]
	v_add_f64 v[68:69], v[68:69], v[58:59]
	v_fma_f64 v[58:59], s[6:7], v[0:1], v[48:49]
	v_add_f64 v[58:59], v[58:59], v[50:51]
	v_mul_f64 v[50:51], v[4:5], s[22:23]
	v_fmac_f64_e32 v[48:49], s[22:23], v[0:1]
	v_add_f64 v[42:43], v[48:49], v[42:43]
	v_fma_f64 v[48:49], v[62:63], s[0:1], -v[50:51]
	v_add_f64 v[48:49], v[48:49], v[40:41]
	v_mul_f64 v[40:41], v[64:65], s[18:19]
	v_fma_f64 v[60:61], s[0:1], v[62:63], v[50:51]
	v_fma_f64 v[50:51], s[40:41], v[0:1], v[40:41]
	v_add_f64 v[38:39], v[50:51], v[38:39]
	v_mul_f64 v[50:51], v[4:5], s[26:27]
	v_fmac_f64_e32 v[40:41], s[26:27], v[0:1]
	v_add_f64 v[34:35], v[40:41], v[34:35]
	v_fma_f64 v[40:41], v[62:63], s[18:19], -v[50:51]
	v_add_f64 v[32:33], v[40:41], v[32:33]
	v_mul_f64 v[40:41], v[64:65], s[2:3]
	v_add_f64 v[44:45], v[60:61], v[44:45]
	v_fma_f64 v[60:61], s[18:19], v[62:63], v[50:51]
	v_fma_f64 v[50:51], s[12:13], v[0:1], v[40:41]
	v_add_f64 v[30:31], v[50:51], v[30:31]
	v_mul_f64 v[50:51], v[4:5], s[28:29]
	v_fmac_f64_e32 v[40:41], s[28:29], v[0:1]
	v_add_f64 v[26:27], v[40:41], v[26:27]
	v_fma_f64 v[40:41], v[62:63], s[2:3], -v[50:51]
	v_add_f64 v[24:25], v[40:41], v[24:25]
	v_mul_f64 v[40:41], v[64:65], s[14:15]
	v_add_f64 v[22:23], v[16:17], v[78:79]
	v_mul_f64 v[16:17], v[8:9], s[22:23]
	v_add_f64 v[36:37], v[60:61], v[36:37]
	v_fma_f64 v[60:61], s[2:3], v[62:63], v[50:51]
	v_fma_f64 v[50:51], s[38:39], v[0:1], v[40:41]
	v_add_f64 v[28:29], v[18:19], v[74:75]
	v_fma_f64 v[18:19], s[0:1], v[96:97], v[16:17]
	v_add_f64 v[22:23], v[50:51], v[22:23]
	v_mul_f64 v[50:51], v[4:5], s[20:21]
	v_add_f64 v[20:21], v[18:19], v[82:83]
	v_add_f64 v[18:19], v[14:15], v[76:77]
	v_fma_f64 v[14:15], v[96:97], s[0:1], -v[16:17]
	v_add_f64 v[28:29], v[60:61], v[28:29]
	v_fma_f64 v[60:61], s[14:15], v[62:63], v[50:51]
	v_add_f64 v[16:17], v[14:15], v[80:81]
	v_add_f64 v[70:71], v[60:61], v[20:21]
	v_fma_f64 v[20:21], v[62:63], s[14:15], -v[50:51]
	v_mul_f64 v[8:9], v[8:9], s[20:21]
	v_add_f64 v[72:73], v[20:21], v[16:17]
	v_mul_f64 v[16:17], v[64:65], s[10:11]
	s_movk_i32 s33, 0x68
	v_add_f64 v[14:15], v[12:13], v[84:85]
	v_fma_f64 v[12:13], s[14:15], v[96:97], v[8:9]
	v_fma_f64 v[8:9], v[96:97], s[14:15], -v[8:9]
	v_fma_f64 v[20:21], s[16:17], v[0:1], v[16:17]
	v_mul_f64 v[4:5], v[4:5], s[30:31]
	v_mad_u32_u24 v50, v66, s33, 0
	s_movk_i32 s33, 0xffa0
	v_add_f64 v[8:9], v[8:9], v[94:95]
	v_fmac_f64_e32 v[40:41], s[20:21], v[0:1]
	v_add_f64 v[14:15], v[20:21], v[14:15]
	v_fma_f64 v[20:21], s[10:11], v[62:63], v[4:5]
	v_fmac_f64_e32 v[16:17], s[30:31], v[0:1]
	v_fma_f64 v[4:5], v[62:63], s[10:11], -v[4:5]
	v_mad_i32_i24 v51, v66, s33, v50
	v_add_f64 v[12:13], v[12:13], v[86:87]
	v_add_f64 v[18:19], v[40:41], v[18:19]
	;; [unrolled: 1-line block ×4, first 2 shown]
	ds_write2_b64 v50, v[56:57], v[6:7] offset1:1
	ds_write2_b64 v50, v[58:59], v[38:39] offset0:2 offset1:3
	ds_write2_b64 v50, v[30:31], v[22:23] offset0:4 offset1:5
	;; [unrolled: 1-line block ×5, first 2 shown]
	ds_write_b64 v50, v[2:3] offset:96
	v_add_u32_e32 v56, 0x800, v51
	v_add_u32_e32 v57, 0x1400, v51
	;; [unrolled: 1-line block ×5, first 2 shown]
	s_movk_i32 s33, 0x4f
	v_add_f64 v[64:65], v[20:21], v[12:13]
	s_waitcnt lgkmcnt(0)
	s_barrier
	ds_read2_b64 v[0:3], v51 offset1:169
	ds_read2_b64 v[20:23], v56 offset0:82 offset1:251
	ds_read2_b64 v[38:41], v57 offset0:36 offset1:205
	;; [unrolled: 1-line block ×5, first 2 shown]
	ds_read_b64 v[42:43], v51 offset:16224
	s_waitcnt lgkmcnt(0)
	s_barrier
	ds_write2_b64 v50, v[54:55], v[68:69] offset1:1
	ds_write2_b64 v50, v[44:45], v[36:37] offset0:2 offset1:3
	ds_write2_b64 v50, v[28:29], v[70:71] offset0:4 offset1:5
	;; [unrolled: 1-line block ×5, first 2 shown]
	ds_write_b64 v50, v[46:47] offset:96
	v_mul_lo_u16_sdwa v8, v66, s33 dst_sel:DWORD dst_unused:UNUSED_PAD src0_sel:BYTE_0 src1_sel:DWORD
	v_lshrrev_b16_e32 v55, 10, v8
	v_mul_lo_u16_e32 v8, 13, v55
	v_sub_u16_e32 v54, v66, v8
	v_mov_b32_e32 v8, 12
	v_mul_u32_u24_sdwa v8, v54, v8 dst_sel:DWORD dst_unused:UNUSED_PAD src0_sel:BYTE_0 src1_sel:DWORD
	v_lshlrev_b32_e32 v8, 4, v8
	s_waitcnt lgkmcnt(0)
	s_barrier
	global_load_dwordx4 v[24:27], v8, s[4:5]
	global_load_dwordx4 v[28:31], v8, s[4:5] offset:16
	global_load_dwordx4 v[32:35], v8, s[4:5] offset:32
	;; [unrolled: 1-line block ×11, first 2 shown]
	ds_read2_b64 v[8:11], v51 offset1:169
	ds_read2_b64 v[100:103], v56 offset0:82 offset1:251
	ds_read2_b64 v[104:107], v57 offset0:36 offset1:205
	;; [unrolled: 1-line block ×5, first 2 shown]
	ds_read_b64 v[48:49], v51 offset:16224
	v_mov_b32_e32 v61, 3
	v_mul_u32_u24_e32 v55, 0x548, v55
	v_lshlrev_b32_sdwa v54, v61, v54 dst_sel:DWORD dst_unused:UNUSED_PAD src0_sel:DWORD src1_sel:BYTE_0
	v_add3_u32 v54, 0, v55, v54
	s_waitcnt lgkmcnt(0)
	s_barrier
	s_waitcnt vmcnt(11)
	v_mul_f64 v[36:37], v[10:11], v[26:27]
	v_fma_f64 v[120:121], v[2:3], v[24:25], -v[36:37]
	v_mul_f64 v[122:123], v[2:3], v[26:27]
	s_waitcnt vmcnt(10)
	v_mul_f64 v[2:3], v[100:101], v[30:31]
	v_fma_f64 v[46:47], v[20:21], v[28:29], -v[2:3]
	s_waitcnt vmcnt(9)
	v_mul_f64 v[2:3], v[102:103], v[34:35]
	v_fma_f64 v[36:37], v[22:23], v[32:33], -v[2:3]
	s_waitcnt vmcnt(8)
	v_mul_f64 v[2:3], v[104:105], v[64:65]
	v_mul_f64 v[44:45], v[20:21], v[30:31]
	v_fma_f64 v[30:31], v[38:39], v[62:63], -v[2:3]
	s_waitcnt vmcnt(7)
	v_mul_f64 v[2:3], v[106:107], v[70:71]
	v_fma_f64 v[26:27], v[40:41], v[68:69], -v[2:3]
	s_waitcnt vmcnt(6)
	;; [unrolled: 3-line block ×3, first 2 shown]
	v_mul_f64 v[2:3], v[110:111], v[78:79]
	v_mul_f64 v[34:35], v[22:23], v[34:35]
	v_fma_f64 v[22:23], v[18:19], v[76:77], -v[2:3]
	s_waitcnt vmcnt(4)
	v_mul_f64 v[2:3], v[112:113], v[82:83]
	v_fmac_f64_e32 v[122:123], v[10:11], v[24:25]
	v_mul_f64 v[10:11], v[16:17], v[74:75]
	v_mul_f64 v[16:17], v[18:19], v[78:79]
	v_fma_f64 v[18:19], v[12:13], v[80:81], -v[2:3]
	s_waitcnt vmcnt(3)
	v_mul_f64 v[2:3], v[114:115], v[86:87]
	v_fmac_f64_e32 v[34:35], v[102:103], v[32:33]
	v_fma_f64 v[32:33], v[14:15], v[84:85], -v[2:3]
	s_waitcnt vmcnt(2)
	v_mul_f64 v[2:3], v[116:117], v[90:91]
	v_fmac_f64_e32 v[44:45], v[100:101], v[28:29]
	v_mul_f64 v[28:29], v[38:39], v[64:65]
	v_mul_f64 v[24:25], v[40:41], v[70:71]
	v_fma_f64 v[40:41], v[4:5], v[88:89], -v[2:3]
	s_waitcnt vmcnt(1)
	v_mul_f64 v[2:3], v[118:119], v[94:95]
	v_fmac_f64_e32 v[28:29], v[104:105], v[62:63]
	v_mul_f64 v[38:39], v[4:5], v[90:91]
	v_fma_f64 v[62:63], v[6:7], v[92:93], -v[2:3]
	s_waitcnt vmcnt(0)
	v_mul_f64 v[2:3], v[48:49], v[98:99]
	v_add_f64 v[4:5], v[8:9], v[122:123]
	v_fma_f64 v[64:65], v[42:43], v[96:97], -v[2:3]
	v_add_f64 v[2:3], v[0:1], v[120:121]
	v_add_f64 v[4:5], v[4:5], v[44:45]
	;; [unrolled: 1-line block ×4, first 2 shown]
	v_fmac_f64_e32 v[24:25], v[106:107], v[68:69]
	v_add_f64 v[2:3], v[2:3], v[36:37]
	v_add_f64 v[4:5], v[4:5], v[28:29]
	v_fmac_f64_e32 v[10:11], v[108:109], v[72:73]
	v_add_f64 v[2:3], v[2:3], v[30:31]
	v_add_f64 v[4:5], v[4:5], v[24:25]
	v_fmac_f64_e32 v[16:17], v[110:111], v[76:77]
	v_mul_f64 v[12:13], v[12:13], v[82:83]
	v_add_f64 v[2:3], v[2:3], v[26:27]
	v_add_f64 v[4:5], v[4:5], v[10:11]
	v_fmac_f64_e32 v[12:13], v[112:113], v[80:81]
	v_mul_f64 v[14:15], v[14:15], v[86:87]
	v_add_f64 v[2:3], v[2:3], v[20:21]
	v_add_f64 v[4:5], v[4:5], v[16:17]
	v_fmac_f64_e32 v[14:15], v[114:115], v[84:85]
	v_add_f64 v[2:3], v[2:3], v[22:23]
	v_add_f64 v[4:5], v[4:5], v[12:13]
	v_fmac_f64_e32 v[38:39], v[116:117], v[88:89]
	v_mul_f64 v[6:7], v[6:7], v[94:95]
	v_add_f64 v[2:3], v[2:3], v[18:19]
	v_add_f64 v[4:5], v[4:5], v[14:15]
	v_fmac_f64_e32 v[6:7], v[118:119], v[92:93]
	v_mul_f64 v[42:43], v[42:43], v[98:99]
	v_add_f64 v[2:3], v[2:3], v[32:33]
	v_add_f64 v[4:5], v[4:5], v[38:39]
	v_fmac_f64_e32 v[42:43], v[48:49], v[96:97]
	v_add_f64 v[2:3], v[2:3], v[40:41]
	v_add_f64 v[4:5], v[4:5], v[6:7]
	;; [unrolled: 1-line block ×5, first 2 shown]
	v_add_f64 v[42:43], v[122:123], -v[42:43]
	v_add_f64 v[2:3], v[2:3], v[64:65]
	v_add_f64 v[48:49], v[120:121], v[64:65]
	v_add_f64 v[64:65], v[120:121], -v[64:65]
	v_mul_f64 v[70:71], v[42:43], s[6:7]
	v_mul_f64 v[78:79], v[42:43], s[12:13]
	v_mul_f64 v[86:87], v[42:43], s[16:17]
	v_mul_f64 v[94:95], v[42:43], s[20:21]
	v_mul_f64 v[102:103], v[42:43], s[26:27]
	v_mul_f64 v[42:43], v[42:43], s[34:35]
	v_fma_f64 v[72:73], v[48:49], s[0:1], -v[70:71]
	v_mul_f64 v[74:75], v[64:65], s[6:7]
	v_fmac_f64_e32 v[70:71], s[0:1], v[48:49]
	v_fma_f64 v[80:81], v[48:49], s[2:3], -v[78:79]
	v_mul_f64 v[82:83], v[64:65], s[12:13]
	v_fmac_f64_e32 v[78:79], s[2:3], v[48:49]
	;; [unrolled: 3-line block ×6, first 2 shown]
	v_add_f64 v[72:73], v[0:1], v[72:73]
	v_fma_f64 v[76:77], s[0:1], v[68:69], v[74:75]
	v_add_f64 v[70:71], v[0:1], v[70:71]
	v_fma_f64 v[74:75], v[68:69], s[0:1], -v[74:75]
	v_add_f64 v[80:81], v[0:1], v[80:81]
	v_fma_f64 v[84:85], s[2:3], v[68:69], v[82:83]
	v_add_f64 v[78:79], v[0:1], v[78:79]
	v_fma_f64 v[82:83], v[68:69], s[2:3], -v[82:83]
	;; [unrolled: 4-line block ×6, first 2 shown]
	v_add_f64 v[48:49], v[44:45], v[6:7]
	v_add_f64 v[6:7], v[44:45], -v[6:7]
	v_add_f64 v[76:77], v[8:9], v[76:77]
	v_add_f64 v[74:75], v[8:9], v[74:75]
	;; [unrolled: 1-line block ×13, first 2 shown]
	v_mul_f64 v[44:45], v[6:7], s[12:13]
	v_add_f64 v[46:47], v[46:47], -v[62:63]
	v_fma_f64 v[62:63], v[42:43], s[2:3], -v[44:45]
	v_fmac_f64_e32 v[44:45], s[2:3], v[42:43]
	v_mul_f64 v[64:65], v[46:47], s[12:13]
	v_add_f64 v[44:45], v[44:45], v[70:71]
	v_mul_f64 v[70:71], v[6:7], s[20:21]
	v_add_f64 v[62:63], v[62:63], v[72:73]
	v_fma_f64 v[68:69], s[2:3], v[48:49], v[64:65]
	v_fma_f64 v[64:65], v[48:49], s[2:3], -v[64:65]
	v_fma_f64 v[72:73], v[42:43], s[14:15], -v[70:71]
	v_fmac_f64_e32 v[70:71], s[14:15], v[42:43]
	v_add_f64 v[64:65], v[64:65], v[74:75]
	v_mul_f64 v[74:75], v[46:47], s[20:21]
	v_add_f64 v[70:71], v[70:71], v[78:79]
	v_mul_f64 v[78:79], v[6:7], s[34:35]
	v_add_f64 v[68:69], v[68:69], v[76:77]
	v_add_f64 v[72:73], v[72:73], v[80:81]
	v_fma_f64 v[76:77], s[14:15], v[48:49], v[74:75]
	v_fma_f64 v[74:75], v[48:49], s[14:15], -v[74:75]
	v_fma_f64 v[80:81], v[42:43], s[24:25], -v[78:79]
	v_fmac_f64_e32 v[78:79], s[24:25], v[42:43]
	v_add_f64 v[74:75], v[74:75], v[82:83]
	v_mul_f64 v[82:83], v[46:47], s[34:35]
	v_add_f64 v[78:79], v[78:79], v[86:87]
	v_mul_f64 v[86:87], v[6:7], s[40:41]
	v_add_f64 v[76:77], v[76:77], v[84:85]
	;; [unrolled: 10-line block ×3, first 2 shown]
	v_add_f64 v[88:89], v[88:89], v[96:97]
	v_fma_f64 v[92:93], s[18:19], v[48:49], v[90:91]
	v_fma_f64 v[90:91], v[48:49], s[18:19], -v[90:91]
	v_fma_f64 v[96:97], v[42:43], s[10:11], -v[94:95]
	v_fmac_f64_e32 v[94:95], s[10:11], v[42:43]
	v_mul_f64 v[6:7], v[6:7], s[22:23]
	v_add_f64 v[90:91], v[90:91], v[98:99]
	v_mul_f64 v[98:99], v[46:47], s[30:31]
	v_add_f64 v[94:95], v[94:95], v[102:103]
	v_fma_f64 v[102:103], v[42:43], s[0:1], -v[6:7]
	v_mul_f64 v[46:47], v[46:47], s[22:23]
	v_fmac_f64_e32 v[6:7], s[0:1], v[42:43]
	v_add_f64 v[0:1], v[6:7], v[0:1]
	v_fma_f64 v[6:7], v[48:49], s[0:1], -v[46:47]
	v_add_f64 v[42:43], v[34:35], v[38:39]
	v_add_f64 v[34:35], v[34:35], -v[38:39]
	v_add_f64 v[6:7], v[6:7], v[8:9]
	v_add_f64 v[8:9], v[36:37], v[40:41]
	v_add_f64 v[36:37], v[36:37], -v[40:41]
	v_mul_f64 v[38:39], v[34:35], s[16:17]
	v_add_f64 v[96:97], v[96:97], v[104:105]
	v_fma_f64 v[104:105], s[0:1], v[48:49], v[46:47]
	v_fma_f64 v[40:41], v[8:9], s[10:11], -v[38:39]
	v_mul_f64 v[46:47], v[36:37], s[16:17]
	v_fmac_f64_e32 v[38:39], s[10:11], v[8:9]
	v_add_f64 v[92:93], v[92:93], v[100:101]
	v_fma_f64 v[100:101], s[10:11], v[48:49], v[98:99]
	v_fma_f64 v[98:99], v[48:49], s[10:11], -v[98:99]
	v_fma_f64 v[48:49], s[10:11], v[42:43], v[46:47]
	v_add_f64 v[38:39], v[38:39], v[44:45]
	v_fma_f64 v[44:45], v[42:43], s[10:11], -v[46:47]
	v_mul_f64 v[46:47], v[34:35], s[34:35]
	v_add_f64 v[40:41], v[40:41], v[62:63]
	v_fma_f64 v[62:63], v[8:9], s[24:25], -v[46:47]
	v_fmac_f64_e32 v[46:47], s[24:25], v[8:9]
	v_add_f64 v[44:45], v[44:45], v[64:65]
	v_mul_f64 v[64:65], v[36:37], s[34:35]
	v_add_f64 v[46:47], v[46:47], v[70:71]
	v_mul_f64 v[70:71], v[34:35], s[38:39]
	v_add_f64 v[48:49], v[48:49], v[68:69]
	v_add_f64 v[62:63], v[62:63], v[72:73]
	v_fma_f64 v[68:69], s[24:25], v[42:43], v[64:65]
	v_fma_f64 v[64:65], v[42:43], s[24:25], -v[64:65]
	v_fma_f64 v[72:73], v[8:9], s[14:15], -v[70:71]
	v_fmac_f64_e32 v[70:71], s[14:15], v[8:9]
	v_add_f64 v[64:65], v[64:65], v[74:75]
	v_mul_f64 v[74:75], v[36:37], s[38:39]
	v_add_f64 v[70:71], v[70:71], v[78:79]
	v_mul_f64 v[78:79], v[34:35], s[22:23]
	v_add_f64 v[68:69], v[68:69], v[76:77]
	v_add_f64 v[72:73], v[72:73], v[80:81]
	v_fma_f64 v[76:77], s[14:15], v[42:43], v[74:75]
	v_fma_f64 v[74:75], v[42:43], s[14:15], -v[74:75]
	;; [unrolled: 10-line block ×3, first 2 shown]
	v_fma_f64 v[88:89], v[8:9], s[2:3], -v[86:87]
	v_fmac_f64_e32 v[86:87], s[2:3], v[8:9]
	v_mul_f64 v[34:35], v[34:35], s[26:27]
	v_add_f64 v[82:83], v[82:83], v[90:91]
	v_mul_f64 v[90:91], v[36:37], s[12:13]
	v_add_f64 v[86:87], v[86:87], v[94:95]
	v_fma_f64 v[94:95], v[8:9], s[18:19], -v[34:35]
	v_mul_f64 v[36:37], v[36:37], s[26:27]
	v_fmac_f64_e32 v[34:35], s[18:19], v[8:9]
	v_add_f64 v[0:1], v[34:35], v[0:1]
	v_fma_f64 v[8:9], v[42:43], s[18:19], -v[36:37]
	v_add_f64 v[34:35], v[28:29], v[14:15]
	v_add_f64 v[14:15], v[28:29], -v[14:15]
	v_add_f64 v[6:7], v[8:9], v[6:7]
	v_add_f64 v[8:9], v[30:31], v[32:33]
	v_mul_f64 v[28:29], v[14:15], s[20:21]
	v_add_f64 v[30:31], v[30:31], -v[32:33]
	v_fma_f64 v[32:33], v[8:9], s[14:15], -v[28:29]
	v_fmac_f64_e32 v[28:29], s[14:15], v[8:9]
	v_add_f64 v[88:89], v[88:89], v[96:97]
	v_fma_f64 v[96:97], s[18:19], v[42:43], v[36:37]
	v_mul_f64 v[36:37], v[30:31], s[20:21]
	v_add_f64 v[28:29], v[28:29], v[38:39]
	v_mul_f64 v[38:39], v[14:15], s[40:41]
	v_add_f64 v[84:85], v[84:85], v[92:93]
	v_fma_f64 v[92:93], s[2:3], v[42:43], v[90:91]
	v_fma_f64 v[90:91], v[42:43], s[2:3], -v[90:91]
	v_add_f64 v[32:33], v[32:33], v[40:41]
	v_fma_f64 v[40:41], s[14:15], v[34:35], v[36:37]
	v_fma_f64 v[36:37], v[34:35], s[14:15], -v[36:37]
	v_fma_f64 v[42:43], v[8:9], s[18:19], -v[38:39]
	v_fmac_f64_e32 v[38:39], s[18:19], v[8:9]
	v_add_f64 v[36:37], v[36:37], v[44:45]
	v_mul_f64 v[44:45], v[30:31], s[40:41]
	v_add_f64 v[38:39], v[38:39], v[46:47]
	v_mul_f64 v[46:47], v[14:15], s[22:23]
	v_add_f64 v[40:41], v[40:41], v[48:49]
	v_add_f64 v[42:43], v[42:43], v[62:63]
	v_fma_f64 v[48:49], s[18:19], v[34:35], v[44:45]
	v_fma_f64 v[44:45], v[34:35], s[18:19], -v[44:45]
	v_fma_f64 v[62:63], v[8:9], s[0:1], -v[46:47]
	v_fmac_f64_e32 v[46:47], s[0:1], v[8:9]
	v_add_f64 v[44:45], v[44:45], v[64:65]
	v_mul_f64 v[64:65], v[30:31], s[22:23]
	v_add_f64 v[46:47], v[46:47], v[70:71]
	v_mul_f64 v[70:71], v[14:15], s[16:17]
	v_add_f64 v[48:49], v[48:49], v[68:69]
	;; [unrolled: 10-line block ×3, first 2 shown]
	v_add_f64 v[72:73], v[72:73], v[80:81]
	v_fma_f64 v[76:77], s[10:11], v[34:35], v[74:75]
	v_fma_f64 v[74:75], v[34:35], s[10:11], -v[74:75]
	v_fma_f64 v[80:81], v[8:9], s[24:25], -v[78:79]
	v_fmac_f64_e32 v[78:79], s[24:25], v[8:9]
	v_mul_f64 v[14:15], v[14:15], s[28:29]
	v_add_f64 v[74:75], v[74:75], v[82:83]
	v_mul_f64 v[82:83], v[30:31], s[36:37]
	v_add_f64 v[78:79], v[78:79], v[86:87]
	v_fma_f64 v[86:87], v[8:9], s[2:3], -v[14:15]
	v_mul_f64 v[30:31], v[30:31], s[28:29]
	v_fmac_f64_e32 v[14:15], s[2:3], v[8:9]
	v_add_f64 v[0:1], v[14:15], v[0:1]
	v_fma_f64 v[8:9], v[34:35], s[2:3], -v[30:31]
	v_add_f64 v[14:15], v[24:25], v[12:13]
	v_add_f64 v[12:13], v[24:25], -v[12:13]
	v_add_f64 v[6:7], v[8:9], v[6:7]
	v_add_f64 v[8:9], v[26:27], v[18:19]
	v_add_f64 v[18:19], v[26:27], -v[18:19]
	v_mul_f64 v[24:25], v[12:13], s[26:27]
	v_add_f64 v[80:81], v[80:81], v[88:89]
	v_fma_f64 v[88:89], s[2:3], v[34:35], v[30:31]
	v_fma_f64 v[26:27], v[8:9], s[18:19], -v[24:25]
	v_mul_f64 v[30:31], v[18:19], s[26:27]
	v_fmac_f64_e32 v[24:25], s[18:19], v[8:9]
	v_add_f64 v[24:25], v[24:25], v[28:29]
	v_fma_f64 v[28:29], v[14:15], s[18:19], -v[30:31]
	v_add_f64 v[26:27], v[26:27], v[32:33]
	v_fma_f64 v[32:33], s[18:19], v[14:15], v[30:31]
	v_add_f64 v[30:31], v[28:29], v[36:37]
	v_mul_f64 v[28:29], v[12:13], s[30:31]
	v_add_f64 v[76:77], v[76:77], v[84:85]
	v_fma_f64 v[84:85], s[24:25], v[34:35], v[82:83]
	v_fma_f64 v[82:83], v[34:35], s[24:25], -v[82:83]
	v_fma_f64 v[34:35], v[8:9], s[10:11], -v[28:29]
	v_mul_f64 v[36:37], v[18:19], s[30:31]
	v_fmac_f64_e32 v[28:29], s[10:11], v[8:9]
	v_add_f64 v[38:39], v[28:29], v[38:39]
	v_fma_f64 v[28:29], v[14:15], s[10:11], -v[36:37]
	v_add_f64 v[32:33], v[32:33], v[40:41]
	v_fma_f64 v[40:41], s[10:11], v[14:15], v[36:37]
	v_add_f64 v[36:37], v[28:29], v[44:45]
	v_mul_f64 v[28:29], v[12:13], s[12:13]
	v_add_f64 v[34:35], v[34:35], v[42:43]
	v_fma_f64 v[42:43], v[8:9], s[2:3], -v[28:29]
	v_mul_f64 v[44:45], v[18:19], s[12:13]
	v_fmac_f64_e32 v[28:29], s[2:3], v[8:9]
	v_add_f64 v[46:47], v[28:29], v[46:47]
	v_fma_f64 v[28:29], v[14:15], s[2:3], -v[44:45]
	v_add_f64 v[40:41], v[40:41], v[48:49]
	v_fma_f64 v[48:49], s[2:3], v[14:15], v[44:45]
	v_add_f64 v[44:45], v[28:29], v[64:65]
	v_mul_f64 v[28:29], v[12:13], s[36:37]
	v_add_f64 v[42:43], v[42:43], v[62:63]
	v_fma_f64 v[62:63], v[8:9], s[24:25], -v[28:29]
	v_mul_f64 v[64:65], v[18:19], s[36:37]
	v_fmac_f64_e32 v[28:29], s[24:25], v[8:9]
	v_add_f64 v[70:71], v[28:29], v[70:71]
	v_fma_f64 v[28:29], v[14:15], s[24:25], -v[64:65]
	v_add_f64 v[98:99], v[98:99], v[106:107]
	v_add_f64 v[48:49], v[48:49], v[68:69]
	v_fma_f64 v[68:69], s[24:25], v[14:15], v[64:65]
	v_add_f64 v[64:65], v[28:29], v[74:75]
	v_mul_f64 v[28:29], v[12:13], s[22:23]
	v_add_f64 v[100:101], v[100:101], v[108:109]
	v_add_f64 v[102:103], v[102:103], v[110:111]
	;; [unrolled: 1-line block ×4, first 2 shown]
	v_fma_f64 v[72:73], v[8:9], s[0:1], -v[28:29]
	v_mul_f64 v[74:75], v[18:19], s[22:23]
	v_fmac_f64_e32 v[28:29], s[0:1], v[8:9]
	v_add_f64 v[104:105], v[104:105], v[112:113]
	v_add_f64 v[92:93], v[92:93], v[100:101]
	;; [unrolled: 1-line block ×5, first 2 shown]
	v_fma_f64 v[28:29], v[14:15], s[0:1], -v[74:75]
	v_mul_f64 v[12:13], v[12:13], s[20:21]
	v_add_f64 v[96:97], v[96:97], v[104:105]
	v_add_f64 v[84:85], v[84:85], v[92:93]
	;; [unrolled: 1-line block ×4, first 2 shown]
	v_fma_f64 v[76:77], s[0:1], v[14:15], v[74:75]
	v_add_f64 v[74:75], v[28:29], v[82:83]
	v_fma_f64 v[28:29], v[8:9], s[14:15], -v[12:13]
	v_mul_f64 v[18:19], v[18:19], s[20:21]
	v_fmac_f64_e32 v[12:13], s[14:15], v[8:9]
	v_add_f64 v[88:89], v[88:89], v[96:97]
	v_add_f64 v[72:73], v[72:73], v[80:81]
	;; [unrolled: 1-line block ×4, first 2 shown]
	v_fma_f64 v[28:29], s[14:15], v[14:15], v[18:19]
	v_add_f64 v[84:85], v[12:13], v[0:1]
	v_fma_f64 v[0:1], v[14:15], s[14:15], -v[18:19]
	v_add_f64 v[94:95], v[10:11], -v[16:17]
	v_add_f64 v[82:83], v[28:29], v[88:89]
	v_add_f64 v[86:87], v[0:1], v[6:7]
	;; [unrolled: 1-line block ×3, first 2 shown]
	v_mul_f64 v[0:1], v[94:95], s[34:35]
	v_add_f64 v[92:93], v[20:21], -v[22:23]
	v_fma_f64 v[6:7], v[88:89], s[24:25], -v[0:1]
	v_add_f64 v[90:91], v[10:11], v[16:17]
	v_add_f64 v[96:97], v[6:7], v[26:27]
	v_mul_f64 v[6:7], v[92:93], s[34:35]
	v_mul_f64 v[12:13], v[92:93], s[22:23]
	v_fma_f64 v[8:9], s[24:25], v[90:91], v[6:7]
	v_fmac_f64_e32 v[0:1], s[24:25], v[88:89]
	v_fma_f64 v[6:7], v[90:91], s[24:25], -v[6:7]
	v_fma_f64 v[14:15], s[0:1], v[90:91], v[12:13]
	v_add_f64 v[0:1], v[0:1], v[24:25]
	v_add_f64 v[6:7], v[6:7], v[30:31]
	v_mul_f64 v[10:11], v[94:95], s[22:23]
	v_add_f64 v[30:31], v[14:15], v[40:41]
	v_fma_f64 v[12:13], v[90:91], s[0:1], -v[12:13]
	v_mul_f64 v[14:15], v[94:95], s[26:27]
	v_mul_f64 v[16:17], v[92:93], s[26:27]
	;; [unrolled: 1-line block ×4, first 2 shown]
	v_add_f64 v[28:29], v[8:9], v[32:33]
	v_fma_f64 v[8:9], v[88:89], s[0:1], -v[10:11]
	v_fmac_f64_e32 v[10:11], s[0:1], v[88:89]
	v_add_f64 v[32:33], v[12:13], v[36:37]
	v_fma_f64 v[12:13], v[88:89], s[18:19], -v[14:15]
	v_fma_f64 v[18:19], s[18:19], v[90:91], v[16:17]
	v_fma_f64 v[22:23], s[2:3], v[90:91], v[20:21]
	;; [unrolled: 1-line block ×3, first 2 shown]
	v_add_f64 v[8:9], v[8:9], v[34:35]
	v_add_f64 v[10:11], v[10:11], v[38:39]
	;; [unrolled: 1-line block ×4, first 2 shown]
	v_fma_f64 v[16:17], v[90:91], s[18:19], -v[16:17]
	v_mul_f64 v[18:19], v[94:95], s[28:29]
	v_add_f64 v[38:39], v[22:23], v[68:69]
	v_fma_f64 v[20:21], v[90:91], s[2:3], -v[20:21]
	v_mul_f64 v[22:23], v[94:95], s[20:21]
	v_add_f64 v[42:43], v[26:27], v[76:77]
	v_fma_f64 v[24:25], v[90:91], s[14:15], -v[24:25]
	v_mul_f64 v[26:27], v[94:95], s[30:31]
	v_fmac_f64_e32 v[14:15], s[18:19], v[88:89]
	v_add_f64 v[36:37], v[16:17], v[44:45]
	v_fma_f64 v[16:17], v[88:89], s[2:3], -v[18:19]
	v_fmac_f64_e32 v[18:19], s[2:3], v[88:89]
	v_add_f64 v[40:41], v[20:21], v[64:65]
	v_fma_f64 v[20:21], v[88:89], s[14:15], -v[22:23]
	v_fmac_f64_e32 v[22:23], s[14:15], v[88:89]
	v_add_f64 v[44:45], v[24:25], v[74:75]
	v_fma_f64 v[24:25], v[88:89], s[10:11], -v[26:27]
	v_fmac_f64_e32 v[26:27], s[10:11], v[88:89]
	v_add_f64 v[14:15], v[14:15], v[46:47]
	v_add_f64 v[16:17], v[16:17], v[62:63]
	;; [unrolled: 1-line block ×7, first 2 shown]
	ds_write2_b64 v54, v[2:3], v[96:97] offset1:13
	ds_write2_b64 v54, v[8:9], v[12:13] offset0:26 offset1:39
	ds_write2_b64 v54, v[16:17], v[20:21] offset0:52 offset1:65
	;; [unrolled: 1-line block ×5, first 2 shown]
	ds_write_b64 v54, v[0:1] offset:1248
	s_waitcnt lgkmcnt(0)
	s_barrier
	ds_read2_b64 v[0:3], v51 offset1:169
	ds_read2_b64 v[8:11], v56 offset0:82 offset1:251
	ds_read2_b64 v[16:19], v57 offset0:36 offset1:205
	;; [unrolled: 1-line block ×5, first 2 shown]
	ds_read_b64 v[98:99], v51 offset:16224
	v_mul_f64 v[48:49], v[92:93], s[30:31]
	v_fma_f64 v[46:47], s[10:11], v[90:91], v[48:49]
	v_fma_f64 v[48:49], v[90:91], s[10:11], -v[48:49]
	v_add_f64 v[46:47], v[46:47], v[82:83]
	v_add_f64 v[48:49], v[48:49], v[86:87]
	s_waitcnt lgkmcnt(0)
	s_barrier
	ds_write2_b64 v54, v[4:5], v[28:29] offset1:13
	ds_write2_b64 v54, v[30:31], v[34:35] offset0:26 offset1:39
	ds_write2_b64 v54, v[38:39], v[42:43] offset0:52 offset1:65
	;; [unrolled: 1-line block ×5, first 2 shown]
	ds_write_b64 v54, v[6:7] offset:1248
	s_waitcnt lgkmcnt(0)
	s_barrier
	s_and_saveexec_b64 s[42:43], vcc
	s_cbranch_execz .LBB0_13
; %bb.12:
	v_mul_u32_u24_e32 v4, 12, v66
	v_lshlrev_b32_e32 v4, 4, v4
	global_load_dwordx4 v[28:31], v4, s[4:5] offset:2576
	global_load_dwordx4 v[32:35], v4, s[4:5] offset:2592
	global_load_dwordx4 v[36:39], v4, s[4:5] offset:2560
	global_load_dwordx4 v[68:71], v4, s[4:5] offset:2608
	global_load_dwordx4 v[74:77], v4, s[4:5] offset:2544
	global_load_dwordx4 v[80:83], v4, s[4:5] offset:2624
	global_load_dwordx4 v[84:87], v4, s[4:5] offset:2528
	global_load_dwordx4 v[88:91], v4, s[4:5] offset:2640
	global_load_dwordx4 v[92:95], v4, s[4:5] offset:2512
	global_load_dwordx4 v[100:103], v4, s[4:5] offset:2656
	global_load_dwordx4 v[104:107], v4, s[4:5] offset:2496
	global_load_dwordx4 v[120:123], v4, s[4:5] offset:2672
	v_mul_i32_i24_e32 v4, 0xffffffa0, v66
	v_add_u32_e32 v40, v50, v4
	v_add_u32_e32 v42, 0x1e00, v40
	;; [unrolled: 1-line block ×6, first 2 shown]
	ds_read2_b64 v[4:7], v40 offset1:169
	ds_read_b64 v[40:41], v40 offset:16224
	ds_read2_b64 v[62:65], v42 offset0:54 offset1:223
	ds_read2_b64 v[108:111], v43 offset0:36 offset1:205
	;; [unrolled: 1-line block ×5, first 2 shown]
	s_waitcnt vmcnt(11)
	v_mul_f64 v[42:43], v[24:25], v[30:31]
	s_waitcnt lgkmcnt(4)
	v_mul_f64 v[30:31], v[62:63], v[30:31]
	v_fmac_f64_e32 v[42:43], v[62:63], v[28:29]
	s_waitcnt vmcnt(8)
	v_mul_f64 v[46:47], v[20:21], v[70:71]
	s_waitcnt lgkmcnt(2)
	v_mul_f64 v[78:79], v[112:113], v[70:71]
	s_waitcnt vmcnt(6)
	v_mul_f64 v[50:51], v[22:23], v[82:83]
	v_mul_f64 v[96:97], v[114:115], v[82:83]
	;; [unrolled: 1-line block ×4, first 2 shown]
	s_waitcnt vmcnt(4)
	v_mul_f64 v[56:57], v[12:13], v[90:91]
	s_waitcnt vmcnt(1)
	v_mul_f64 v[82:83], v[2:3], v[106:107]
	s_waitcnt lgkmcnt(0)
	v_mul_f64 v[90:91], v[124:125], v[90:91]
	s_waitcnt vmcnt(0)
	v_mul_f64 v[72:73], v[98:99], v[122:123]
	v_fmac_f64_e32 v[82:83], v[6:7], v[104:105]
	v_mul_f64 v[6:7], v[6:7], v[106:107]
	v_mul_f64 v[66:67], v[8:9], v[94:95]
	;; [unrolled: 1-line block ×3, first 2 shown]
	v_fmac_f64_e32 v[46:47], v[112:113], v[68:69]
	v_fma_f64 v[68:69], v[20:21], v[68:69], -v[78:79]
	v_fma_f64 v[78:79], v[16:17], v[74:75], -v[76:77]
	v_fmac_f64_e32 v[56:57], v[124:125], v[88:89]
	v_fma_f64 v[76:77], v[12:13], v[88:89], -v[90:91]
	v_fmac_f64_e32 v[72:73], v[40:41], v[120:121]
	v_fma_f64 v[88:89], v[2:3], v[104:105], -v[6:7]
	v_mul_f64 v[2:3], v[40:41], v[122:123]
	v_mul_f64 v[58:59], v[10:11], v[86:87]
	;; [unrolled: 1-line block ×5, first 2 shown]
	v_fmac_f64_e32 v[66:67], v[116:117], v[92:93]
	v_fmac_f64_e32 v[60:61], v[126:127], v[100:101]
	v_add_f64 v[124:125], v[82:83], v[72:73]
	v_fma_f64 v[2:3], v[98:99], v[120:121], -v[2:3]
	v_fma_f64 v[62:63], v[24:25], v[28:29], -v[30:31]
	v_fmac_f64_e32 v[54:55], v[108:109], v[74:75]
	v_fmac_f64_e32 v[50:51], v[114:115], v[80:81]
	v_fma_f64 v[74:75], v[22:23], v[80:81], -v[96:97]
	v_fmac_f64_e32 v[58:59], v[118:119], v[84:85]
	v_fma_f64 v[84:85], v[10:11], v[84:85], -v[86:87]
	v_fma_f64 v[86:87], v[8:9], v[92:93], -v[94:95]
	;; [unrolled: 1-line block ×3, first 2 shown]
	v_add_f64 v[118:119], v[66:67], v[60:61]
	v_mul_f64 v[24:25], v[124:125], s[24:25]
	v_add_f64 v[98:99], v[88:89], -v[2:3]
	v_mul_f64 v[48:49], v[18:19], v[38:39]
	v_add_f64 v[114:115], v[58:59], v[56:57]
	v_add_f64 v[96:97], v[86:87], -v[80:81]
	v_mul_f64 v[16:17], v[118:119], s[0:1]
	v_fma_f64 v[6:7], s[36:37], v[98:99], v[24:25]
	v_mul_f64 v[38:39], v[110:111], v[38:39]
	v_fmac_f64_e32 v[48:49], v[110:111], v[36:37]
	v_add_f64 v[110:111], v[54:55], v[50:51]
	v_add_f64 v[94:95], v[84:85], -v[76:77]
	v_mul_f64 v[14:15], v[114:115], s[18:19]
	v_fma_f64 v[22:23], s[6:7], v[96:97], v[16:17]
	v_add_f64 v[6:7], v[4:5], v[6:7]
	v_fma_f64 v[70:71], v[18:19], v[36:37], -v[38:39]
	v_add_f64 v[108:109], v[48:49], v[46:47]
	v_add_f64 v[92:93], v[78:79], -v[74:75]
	v_mul_f64 v[12:13], v[110:111], s[2:3]
	v_fma_f64 v[20:21], s[40:41], v[94:95], v[14:15]
	v_add_f64 v[6:7], v[22:23], v[6:7]
	v_add_f64 v[132:133], v[82:83], -v[72:73]
	v_mul_f64 v[44:45], v[26:27], v[34:35]
	v_mul_f64 v[34:35], v[64:65], v[34:35]
	v_add_f64 v[90:91], v[70:71], -v[68:69]
	v_mul_f64 v[10:11], v[108:109], s[14:15]
	v_fma_f64 v[18:19], s[12:13], v[92:93], v[12:13]
	v_add_f64 v[6:7], v[20:21], v[6:7]
	v_add_f64 v[128:129], v[66:67], -v[60:61]
	v_add_f64 v[106:107], v[88:89], v[2:3]
	v_mul_f64 v[22:23], v[132:133], s[34:35]
	v_fmac_f64_e32 v[24:25], s[34:35], v[98:99]
	v_fmac_f64_e32 v[44:45], v[64:65], v[32:33]
	v_fma_f64 v[64:65], v[26:27], v[32:33], -v[34:35]
	v_fma_f64 v[8:9], s[38:39], v[90:91], v[10:11]
	v_add_f64 v[6:7], v[18:19], v[6:7]
	v_add_f64 v[122:123], v[58:59], -v[56:57]
	v_add_f64 v[104:105], v[86:87], v[80:81]
	v_mul_f64 v[20:21], v[128:129], s[22:23]
	v_fma_f64 v[26:27], s[24:25], v[106:107], v[22:23]
	v_fmac_f64_e32 v[16:17], s[22:23], v[96:97]
	v_add_f64 v[24:25], v[4:5], v[24:25]
	v_add_f64 v[6:7], v[8:9], v[6:7]
	;; [unrolled: 1-line block ×3, first 2 shown]
	v_mul_f64 v[18:19], v[122:123], s[26:27]
	v_fma_f64 v[8:9], s[0:1], v[104:105], v[20:21]
	v_add_f64 v[26:27], v[0:1], v[26:27]
	v_add_f64 v[16:17], v[16:17], v[24:25]
	v_fmac_f64_e32 v[14:15], s[26:27], v[94:95]
	v_add_f64 v[120:121], v[54:55], -v[50:51]
	v_add_f64 v[8:9], v[8:9], v[26:27]
	v_fma_f64 v[26:27], s[18:19], v[102:103], v[18:19]
	v_add_f64 v[14:15], v[14:15], v[16:17]
	v_fmac_f64_e32 v[12:13], s[28:29], v[92:93]
	v_add_f64 v[100:101], v[78:79], v[74:75]
	v_add_f64 v[8:9], v[26:27], v[8:9]
	v_mul_f64 v[26:27], v[120:121], s[28:29]
	v_add_f64 v[12:13], v[12:13], v[14:15]
	v_fmac_f64_e32 v[10:11], s[20:21], v[90:91]
	v_fma_f64 v[14:15], v[106:107], s[24:25], -v[22:23]
	v_fma_f64 v[28:29], s[2:3], v[100:101], v[26:27]
	v_add_f64 v[130:131], v[48:49], -v[46:47]
	v_add_f64 v[10:11], v[10:11], v[12:13]
	v_fma_f64 v[12:13], v[104:105], s[0:1], -v[20:21]
	v_add_f64 v[14:15], v[0:1], v[14:15]
	v_add_f64 v[8:9], v[28:29], v[8:9]
	;; [unrolled: 1-line block ×3, first 2 shown]
	v_mul_f64 v[28:29], v[130:131], s[20:21]
	v_add_f64 v[134:135], v[42:43], v[44:45]
	v_add_f64 v[12:13], v[12:13], v[14:15]
	v_fma_f64 v[14:15], v[102:103], s[18:19], -v[18:19]
	v_fma_f64 v[30:31], s[14:15], v[112:113], v[28:29]
	v_mul_f64 v[32:33], v[134:135], s[10:11]
	v_add_f64 v[126:127], v[62:63], -v[64:65]
	v_add_f64 v[136:137], v[42:43], -v[44:45]
	v_add_f64 v[12:13], v[14:15], v[12:13]
	v_fma_f64 v[14:15], v[100:101], s[2:3], -v[26:27]
	v_add_f64 v[30:31], v[30:31], v[8:9]
	v_fma_f64 v[8:9], s[16:17], v[126:127], v[32:33]
	v_add_f64 v[116:117], v[62:63], v[64:65]
	v_mul_f64 v[34:35], v[136:137], s[30:31]
	v_add_f64 v[12:13], v[14:15], v[12:13]
	v_fma_f64 v[14:15], v[112:113], s[14:15], -v[28:29]
	v_fmac_f64_e32 v[32:33], s[30:31], v[126:127]
	v_add_f64 v[14:15], v[14:15], v[12:13]
	v_add_f64 v[12:13], v[32:33], v[10:11]
	v_fma_f64 v[10:11], v[116:117], s[10:11], -v[34:35]
	v_mul_f64 v[18:19], v[124:125], s[18:19]
	v_add_f64 v[10:11], v[10:11], v[14:15]
	v_fma_f64 v[14:15], s[40:41], v[98:99], v[18:19]
	v_mul_f64 v[20:21], v[118:119], s[10:11]
	v_add_f64 v[14:15], v[4:5], v[14:15]
	v_fma_f64 v[16:17], s[16:17], v[96:97], v[20:21]
	v_mul_f64 v[22:23], v[114:115], s[2:3]
	v_add_f64 v[14:15], v[16:17], v[14:15]
	v_fma_f64 v[16:17], s[28:29], v[94:95], v[22:23]
	v_mul_f64 v[24:25], v[110:111], s[24:25]
	v_add_f64 v[14:15], v[16:17], v[14:15]
	v_fma_f64 v[16:17], s[34:35], v[92:93], v[24:25]
	v_mul_f64 v[26:27], v[108:109], s[0:1]
	v_add_f64 v[8:9], v[8:9], v[6:7]
	v_fma_f64 v[6:7], s[10:11], v[116:117], v[34:35]
	v_add_f64 v[14:15], v[16:17], v[14:15]
	v_fma_f64 v[16:17], s[6:7], v[90:91], v[26:27]
	v_mul_f64 v[28:29], v[132:133], s[26:27]
	v_add_f64 v[6:7], v[6:7], v[30:31]
	v_add_f64 v[14:15], v[16:17], v[14:15]
	v_fma_f64 v[16:17], s[18:19], v[106:107], v[28:29]
	v_mul_f64 v[30:31], v[128:129], s[30:31]
	v_add_f64 v[16:17], v[0:1], v[16:17]
	v_fma_f64 v[32:33], s[10:11], v[104:105], v[30:31]
	v_fmac_f64_e32 v[18:19], s[26:27], v[98:99]
	v_add_f64 v[16:17], v[32:33], v[16:17]
	v_mul_f64 v[32:33], v[122:123], s[12:13]
	v_fmac_f64_e32 v[20:21], s[30:31], v[96:97]
	v_add_f64 v[18:19], v[4:5], v[18:19]
	v_fma_f64 v[34:35], s[2:3], v[102:103], v[32:33]
	v_add_f64 v[18:19], v[20:21], v[18:19]
	v_fmac_f64_e32 v[22:23], s[12:13], v[94:95]
	v_add_f64 v[16:17], v[34:35], v[16:17]
	v_mul_f64 v[34:35], v[120:121], s[36:37]
	v_add_f64 v[18:19], v[22:23], v[18:19]
	v_fma_f64 v[22:23], v[106:107], s[18:19], -v[28:29]
	v_fma_f64 v[36:37], s[24:25], v[100:101], v[34:35]
	v_fma_f64 v[20:21], v[104:105], s[10:11], -v[30:31]
	v_add_f64 v[22:23], v[0:1], v[22:23]
	v_add_f64 v[16:17], v[36:37], v[16:17]
	v_mul_f64 v[36:37], v[130:131], s[22:23]
	v_fmac_f64_e32 v[24:25], s[36:37], v[92:93]
	v_add_f64 v[20:21], v[20:21], v[22:23]
	v_fma_f64 v[22:23], v[102:103], s[2:3], -v[32:33]
	v_fma_f64 v[38:39], s[0:1], v[112:113], v[36:37]
	v_mul_f64 v[40:41], v[134:135], s[14:15]
	v_add_f64 v[18:19], v[24:25], v[18:19]
	v_fmac_f64_e32 v[26:27], s[22:23], v[90:91]
	v_add_f64 v[20:21], v[22:23], v[20:21]
	v_fma_f64 v[22:23], v[100:101], s[24:25], -v[34:35]
	v_add_f64 v[38:39], v[38:39], v[16:17]
	v_fma_f64 v[16:17], s[38:39], v[126:127], v[40:41]
	v_mul_f64 v[140:141], v[136:137], s[20:21]
	v_add_f64 v[18:19], v[26:27], v[18:19]
	v_add_f64 v[20:21], v[22:23], v[20:21]
	v_fma_f64 v[22:23], v[112:113], s[0:1], -v[36:37]
	v_fmac_f64_e32 v[40:41], s[20:21], v[126:127]
	v_add_f64 v[22:23], v[22:23], v[20:21]
	v_add_f64 v[20:21], v[40:41], v[18:19]
	v_fma_f64 v[18:19], v[116:117], s[14:15], -v[140:141]
	v_mul_f64 v[26:27], v[124:125], s[14:15]
	v_add_f64 v[18:19], v[18:19], v[22:23]
	v_fma_f64 v[22:23], s[38:39], v[98:99], v[26:27]
	v_mul_f64 v[28:29], v[118:119], s[18:19]
	v_add_f64 v[22:23], v[4:5], v[22:23]
	v_fma_f64 v[24:25], s[26:27], v[96:97], v[28:29]
	v_mul_f64 v[30:31], v[114:115], s[0:1]
	v_add_f64 v[22:23], v[24:25], v[22:23]
	v_fma_f64 v[24:25], s[6:7], v[94:95], v[30:31]
	v_mul_f64 v[32:33], v[110:111], s[10:11]
	v_add_f64 v[22:23], v[24:25], v[22:23]
	v_fma_f64 v[24:25], s[30:31], v[92:93], v[32:33]
	v_mul_f64 v[34:35], v[108:109], s[24:25]
	v_add_f64 v[16:17], v[16:17], v[14:15]
	v_fma_f64 v[14:15], s[14:15], v[116:117], v[140:141]
	v_add_f64 v[22:23], v[24:25], v[22:23]
	v_fma_f64 v[24:25], s[34:35], v[90:91], v[34:35]
	v_mul_f64 v[36:37], v[132:133], s[20:21]
	v_add_f64 v[14:15], v[14:15], v[38:39]
	v_add_f64 v[22:23], v[24:25], v[22:23]
	v_fma_f64 v[24:25], s[14:15], v[106:107], v[36:37]
	v_mul_f64 v[38:39], v[128:129], s[40:41]
	v_add_f64 v[24:25], v[0:1], v[24:25]
	v_fma_f64 v[40:41], s[18:19], v[104:105], v[38:39]
	v_fmac_f64_e32 v[26:27], s[20:21], v[98:99]
	v_add_f64 v[24:25], v[40:41], v[24:25]
	v_mul_f64 v[40:41], v[122:123], s[22:23]
	v_fmac_f64_e32 v[28:29], s[40:41], v[96:97]
	v_add_f64 v[26:27], v[4:5], v[26:27]
	v_fma_f64 v[140:141], s[0:1], v[102:103], v[40:41]
	v_add_f64 v[26:27], v[28:29], v[26:27]
	v_fmac_f64_e32 v[30:31], s[22:23], v[94:95]
	v_add_f64 v[24:25], v[140:141], v[24:25]
	v_mul_f64 v[140:141], v[120:121], s[16:17]
	v_add_f64 v[26:27], v[30:31], v[26:27]
	v_fma_f64 v[30:31], v[106:107], s[14:15], -v[36:37]
	v_fma_f64 v[142:143], s[10:11], v[100:101], v[140:141]
	v_fma_f64 v[28:29], v[104:105], s[18:19], -v[38:39]
	v_add_f64 v[30:31], v[0:1], v[30:31]
	v_add_f64 v[24:25], v[142:143], v[24:25]
	v_mul_f64 v[142:143], v[130:131], s[36:37]
	v_fmac_f64_e32 v[32:33], s[16:17], v[92:93]
	v_add_f64 v[28:29], v[28:29], v[30:31]
	v_fma_f64 v[30:31], v[102:103], s[0:1], -v[40:41]
	v_fma_f64 v[144:145], s[24:25], v[112:113], v[142:143]
	v_mul_f64 v[146:147], v[134:135], s[2:3]
	v_add_f64 v[26:27], v[32:33], v[26:27]
	v_fmac_f64_e32 v[34:35], s[36:37], v[90:91]
	v_add_f64 v[28:29], v[30:31], v[28:29]
	v_fma_f64 v[30:31], v[100:101], s[10:11], -v[140:141]
	v_add_f64 v[144:145], v[144:145], v[24:25]
	v_fma_f64 v[24:25], s[12:13], v[126:127], v[146:147]
	v_mul_f64 v[148:149], v[136:137], s[28:29]
	v_add_f64 v[26:27], v[34:35], v[26:27]
	;; [unrolled: 60-line block ×4, first 2 shown]
	v_add_f64 v[142:143], v[144:145], v[142:143]
	v_fma_f64 v[144:145], v[112:113], s[10:11], -v[158:159]
	v_fmac_f64_e32 v[162:163], s[22:23], v[126:127]
	v_add_f64 v[144:145], v[144:145], v[142:143]
	v_add_f64 v[142:143], v[162:163], v[140:141]
	v_fma_f64 v[140:141], v[116:117], s[0:1], -v[164:165]
	v_mul_f64 v[124:125], v[124:125], s[0:1]
	v_add_f64 v[140:141], v[140:141], v[144:145]
	v_mul_f64 v[118:119], v[118:119], s[2:3]
	v_fma_f64 v[144:145], s[22:23], v[98:99], v[124:125]
	v_add_f64 v[144:145], v[4:5], v[144:145]
	v_fma_f64 v[146:147], s[28:29], v[96:97], v[118:119]
	v_mul_f64 v[114:115], v[114:115], s[10:11]
	v_add_f64 v[144:145], v[146:147], v[144:145]
	v_fma_f64 v[146:147], s[30:31], v[94:95], v[114:115]
	v_add_f64 v[144:145], v[146:147], v[144:145]
	v_mul_f64 v[146:147], v[110:111], s[14:15]
	v_fma_f64 v[110:111], s[38:39], v[92:93], v[146:147]
	v_add_f64 v[110:111], v[110:111], v[144:145]
	v_mul_f64 v[144:145], v[108:109], s[18:19]
	v_fma_f64 v[108:109], s[40:41], v[90:91], v[144:145]
	v_mul_f64 v[132:133], v[132:133], s[6:7]
	v_add_f64 v[108:109], v[108:109], v[110:111]
	v_mul_f64 v[128:129], v[128:129], s[12:13]
	v_fma_f64 v[110:111], s[0:1], v[106:107], v[132:133]
	v_add_f64 v[110:111], v[0:1], v[110:111]
	v_fma_f64 v[148:149], s[2:3], v[104:105], v[128:129]
	v_mul_f64 v[122:123], v[122:123], s[16:17]
	v_add_f64 v[110:111], v[148:149], v[110:111]
	v_fma_f64 v[148:149], s[10:11], v[102:103], v[122:123]
	v_mul_f64 v[120:121], v[120:121], s[20:21]
	v_add_f64 v[110:111], v[148:149], v[110:111]
	v_fma_f64 v[148:149], s[14:15], v[100:101], v[120:121]
	v_fmac_f64_e32 v[124:125], s[6:7], v[98:99]
	v_fma_f64 v[98:99], v[100:101], s[14:15], -v[120:121]
	v_fma_f64 v[100:101], v[102:103], s[10:11], -v[122:123]
	;; [unrolled: 1-line block ×3, first 2 shown]
	v_add_f64 v[102:103], v[0:1], v[102:103]
	v_add_f64 v[0:1], v[0:1], v[88:89]
	;; [unrolled: 1-line block ×5, first 2 shown]
	v_fmac_f64_e32 v[144:145], s[26:27], v[90:91]
	v_add_f64 v[90:91], v[4:5], v[124:125]
	v_add_f64 v[4:5], v[4:5], v[82:83]
	;; [unrolled: 1-line block ×16, first 2 shown]
	v_fma_f64 v[34:35], s[0:1], v[116:117], v[164:165]
	v_add_f64 v[4:5], v[46:47], v[4:5]
	v_add_f64 v[2:3], v[2:3], v[0:1]
	v_mad_u64_u32 v[0:1], s[0:1], s8, v138, 0
	v_add_f64 v[4:5], v[50:51], v[4:5]
	v_mov_b32_e32 v42, v1
	v_fmac_f64_e32 v[118:119], s[12:13], v[96:97]
	v_add_f64 v[4:5], v[56:57], v[4:5]
	v_mad_u64_u32 v[42:43], s[0:1], s9, v138, v[42:43]
	v_fmac_f64_e32 v[114:115], s[16:17], v[94:95]
	v_add_f64 v[90:91], v[118:119], v[90:91]
	v_add_f64 v[4:5], v[60:61], v[4:5]
	v_mov_b32_e32 v1, v42
	v_mul_f64 v[130:131], v[130:131], s[26:27]
	v_fmac_f64_e32 v[146:147], s[20:21], v[92:93]
	v_add_f64 v[90:91], v[114:115], v[90:91]
	v_add_f64 v[4:5], v[72:73], v[4:5]
	v_lshl_add_u64 v[0:1], v[0:1], 4, v[52:53]
	v_add_f64 v[110:111], v[148:149], v[110:111]
	v_fma_f64 v[148:149], s[18:19], v[112:113], v[130:131]
	v_mul_f64 v[134:135], v[134:135], s[24:25]
	v_add_f64 v[90:91], v[146:147], v[90:91]
	v_fma_f64 v[92:93], v[104:105], s[2:3], -v[128:129]
	global_store_dwordx4 v[0:1], v[2:5], off
	v_add_f64 v[148:149], v[148:149], v[110:111]
	v_fma_f64 v[110:111], s[36:37], v[126:127], v[134:135]
	v_add_u32_e32 v3, 0xa9, v138
	v_fmac_f64_e32 v[134:135], s[34:35], v[126:127]
	v_add_f64 v[90:91], v[144:145], v[90:91]
	v_add_f64 v[102:103], v[92:93], v[102:103]
	v_mad_u64_u32 v[0:1], s[0:1], s8, v3, 0
	v_add_f64 v[92:93], v[134:135], v[90:91]
	v_add_f64 v[90:91], v[100:101], v[102:103]
	v_mov_b32_e32 v2, v1
	v_mul_f64 v[136:137], v[136:137], s[34:35]
	v_fma_f64 v[96:97], v[112:113], s[18:19], -v[130:131]
	v_add_f64 v[90:91], v[98:99], v[90:91]
	v_mad_u64_u32 v[2:3], s[0:1], s9, v3, v[2:3]
	v_fma_f64 v[94:95], v[116:117], s[24:25], -v[136:137]
	v_add_f64 v[90:91], v[96:97], v[90:91]
	v_mov_b32_e32 v1, v2
	v_add_f64 v[90:91], v[94:95], v[90:91]
	v_lshl_add_u64 v[0:1], v[0:1], 4, v[52:53]
	v_add_u32_e32 v3, 0x152, v138
	global_store_dwordx4 v[0:1], v[90:93], off
	v_mad_u64_u32 v[0:1], s[0:1], s8, v3, 0
	v_mov_b32_e32 v2, v1
	v_mad_u64_u32 v[2:3], s[0:1], s9, v3, v[2:3]
	v_mov_b32_e32 v1, v2
	v_lshl_add_u64 v[0:1], v[0:1], 4, v[52:53]
	v_add_u32_e32 v3, 0x1fb, v138
	global_store_dwordx4 v[0:1], v[140:143], off
	v_mad_u64_u32 v[0:1], s[0:1], s8, v3, 0
	v_mov_b32_e32 v2, v1
	v_mad_u64_u32 v[2:3], s[0:1], s9, v3, v[2:3]
	v_mov_b32_e32 v1, v2
	;; [unrolled: 7-line block ×10, first 2 shown]
	v_add_f64 v[34:35], v[34:35], v[160:161]
	v_lshl_add_u64 v[0:1], v[0:1], 4, v[52:53]
	v_add_u32_e32 v3, 0x7ec, v138
	global_store_dwordx4 v[0:1], v[34:37], off
	v_mad_u64_u32 v[0:1], s[0:1], s8, v3, 0
	v_mov_b32_e32 v2, v1
	v_mad_u64_u32 v[2:3], s[0:1], s9, v3, v[2:3]
	v_add_f64 v[110:111], v[110:111], v[108:109]
	v_fma_f64 v[108:109], s[24:25], v[116:117], v[136:137]
	v_mov_b32_e32 v1, v2
	v_add_f64 v[108:109], v[108:109], v[148:149]
	v_lshl_add_u64 v[0:1], v[0:1], 4, v[52:53]
	global_store_dwordx4 v[0:1], v[108:111], off
.LBB0_13:
	s_endpgm
	.section	.rodata,"a",@progbits
	.p2align	6, 0x0
	.amdhsa_kernel fft_rtc_fwd_len2197_factors_13_13_13_wgs_169_tpt_169_halfLds_dp_ip_CI_sbrr_dirReg
		.amdhsa_group_segment_fixed_size 0
		.amdhsa_private_segment_fixed_size 0
		.amdhsa_kernarg_size 88
		.amdhsa_user_sgpr_count 2
		.amdhsa_user_sgpr_dispatch_ptr 0
		.amdhsa_user_sgpr_queue_ptr 0
		.amdhsa_user_sgpr_kernarg_segment_ptr 1
		.amdhsa_user_sgpr_dispatch_id 0
		.amdhsa_user_sgpr_kernarg_preload_length 0
		.amdhsa_user_sgpr_kernarg_preload_offset 0
		.amdhsa_user_sgpr_private_segment_size 0
		.amdhsa_uses_dynamic_stack 0
		.amdhsa_enable_private_segment 0
		.amdhsa_system_sgpr_workgroup_id_x 1
		.amdhsa_system_sgpr_workgroup_id_y 0
		.amdhsa_system_sgpr_workgroup_id_z 0
		.amdhsa_system_sgpr_workgroup_info 0
		.amdhsa_system_vgpr_workitem_id 0
		.amdhsa_next_free_vgpr 166
		.amdhsa_next_free_sgpr 44
		.amdhsa_accum_offset 168
		.amdhsa_reserve_vcc 1
		.amdhsa_float_round_mode_32 0
		.amdhsa_float_round_mode_16_64 0
		.amdhsa_float_denorm_mode_32 3
		.amdhsa_float_denorm_mode_16_64 3
		.amdhsa_dx10_clamp 1
		.amdhsa_ieee_mode 1
		.amdhsa_fp16_overflow 0
		.amdhsa_tg_split 0
		.amdhsa_exception_fp_ieee_invalid_op 0
		.amdhsa_exception_fp_denorm_src 0
		.amdhsa_exception_fp_ieee_div_zero 0
		.amdhsa_exception_fp_ieee_overflow 0
		.amdhsa_exception_fp_ieee_underflow 0
		.amdhsa_exception_fp_ieee_inexact 0
		.amdhsa_exception_int_div_zero 0
	.end_amdhsa_kernel
	.text
.Lfunc_end0:
	.size	fft_rtc_fwd_len2197_factors_13_13_13_wgs_169_tpt_169_halfLds_dp_ip_CI_sbrr_dirReg, .Lfunc_end0-fft_rtc_fwd_len2197_factors_13_13_13_wgs_169_tpt_169_halfLds_dp_ip_CI_sbrr_dirReg
                                        ; -- End function
	.section	.AMDGPU.csdata,"",@progbits
; Kernel info:
; codeLenInByte = 13780
; NumSgprs: 50
; NumVgprs: 166
; NumAgprs: 0
; TotalNumVgprs: 166
; ScratchSize: 0
; MemoryBound: 1
; FloatMode: 240
; IeeeMode: 1
; LDSByteSize: 0 bytes/workgroup (compile time only)
; SGPRBlocks: 6
; VGPRBlocks: 20
; NumSGPRsForWavesPerEU: 50
; NumVGPRsForWavesPerEU: 166
; AccumOffset: 168
; Occupancy: 3
; WaveLimiterHint : 1
; COMPUTE_PGM_RSRC2:SCRATCH_EN: 0
; COMPUTE_PGM_RSRC2:USER_SGPR: 2
; COMPUTE_PGM_RSRC2:TRAP_HANDLER: 0
; COMPUTE_PGM_RSRC2:TGID_X_EN: 1
; COMPUTE_PGM_RSRC2:TGID_Y_EN: 0
; COMPUTE_PGM_RSRC2:TGID_Z_EN: 0
; COMPUTE_PGM_RSRC2:TIDIG_COMP_CNT: 0
; COMPUTE_PGM_RSRC3_GFX90A:ACCUM_OFFSET: 41
; COMPUTE_PGM_RSRC3_GFX90A:TG_SPLIT: 0
	.text
	.p2alignl 6, 3212836864
	.fill 256, 4, 3212836864
	.type	__hip_cuid_6782da56a67220a1,@object ; @__hip_cuid_6782da56a67220a1
	.section	.bss,"aw",@nobits
	.globl	__hip_cuid_6782da56a67220a1
__hip_cuid_6782da56a67220a1:
	.byte	0                               ; 0x0
	.size	__hip_cuid_6782da56a67220a1, 1

	.ident	"AMD clang version 19.0.0git (https://github.com/RadeonOpenCompute/llvm-project roc-6.4.0 25133 c7fe45cf4b819c5991fe208aaa96edf142730f1d)"
	.section	".note.GNU-stack","",@progbits
	.addrsig
	.addrsig_sym __hip_cuid_6782da56a67220a1
	.amdgpu_metadata
---
amdhsa.kernels:
  - .agpr_count:     0
    .args:
      - .actual_access:  read_only
        .address_space:  global
        .offset:         0
        .size:           8
        .value_kind:     global_buffer
      - .offset:         8
        .size:           8
        .value_kind:     by_value
      - .actual_access:  read_only
        .address_space:  global
        .offset:         16
        .size:           8
        .value_kind:     global_buffer
      - .actual_access:  read_only
        .address_space:  global
        .offset:         24
        .size:           8
        .value_kind:     global_buffer
      - .offset:         32
        .size:           8
        .value_kind:     by_value
      - .actual_access:  read_only
        .address_space:  global
        .offset:         40
        .size:           8
        .value_kind:     global_buffer
      - .actual_access:  read_only
        .address_space:  global
        .offset:         48
        .size:           8
        .value_kind:     global_buffer
      - .offset:         56
        .size:           4
        .value_kind:     by_value
      - .actual_access:  read_only
        .address_space:  global
        .offset:         64
        .size:           8
        .value_kind:     global_buffer
      - .actual_access:  read_only
        .address_space:  global
        .offset:         72
        .size:           8
        .value_kind:     global_buffer
      - .address_space:  global
        .offset:         80
        .size:           8
        .value_kind:     global_buffer
    .group_segment_fixed_size: 0
    .kernarg_segment_align: 8
    .kernarg_segment_size: 88
    .language:       OpenCL C
    .language_version:
      - 2
      - 0
    .max_flat_workgroup_size: 169
    .name:           fft_rtc_fwd_len2197_factors_13_13_13_wgs_169_tpt_169_halfLds_dp_ip_CI_sbrr_dirReg
    .private_segment_fixed_size: 0
    .sgpr_count:     50
    .sgpr_spill_count: 0
    .symbol:         fft_rtc_fwd_len2197_factors_13_13_13_wgs_169_tpt_169_halfLds_dp_ip_CI_sbrr_dirReg.kd
    .uniform_work_group_size: 1
    .uses_dynamic_stack: false
    .vgpr_count:     166
    .vgpr_spill_count: 0
    .wavefront_size: 64
amdhsa.target:   amdgcn-amd-amdhsa--gfx950
amdhsa.version:
  - 1
  - 2
...

	.end_amdgpu_metadata
